;; amdgpu-corpus repo=ROCm/rocFFT kind=compiled arch=gfx1100 opt=O3
	.text
	.amdgcn_target "amdgcn-amd-amdhsa--gfx1100"
	.amdhsa_code_object_version 6
	.protected	fft_rtc_fwd_len3240_factors_3_3_10_6_6_wgs_108_tpt_108_halfLds_dp_ip_CI_unitstride_sbrr_dirReg ; -- Begin function fft_rtc_fwd_len3240_factors_3_3_10_6_6_wgs_108_tpt_108_halfLds_dp_ip_CI_unitstride_sbrr_dirReg
	.globl	fft_rtc_fwd_len3240_factors_3_3_10_6_6_wgs_108_tpt_108_halfLds_dp_ip_CI_unitstride_sbrr_dirReg
	.p2align	8
	.type	fft_rtc_fwd_len3240_factors_3_3_10_6_6_wgs_108_tpt_108_halfLds_dp_ip_CI_unitstride_sbrr_dirReg,@function
fft_rtc_fwd_len3240_factors_3_3_10_6_6_wgs_108_tpt_108_halfLds_dp_ip_CI_unitstride_sbrr_dirReg: ; @fft_rtc_fwd_len3240_factors_3_3_10_6_6_wgs_108_tpt_108_halfLds_dp_ip_CI_unitstride_sbrr_dirReg
; %bb.0:
	s_clause 0x2
	s_load_b128 s[4:7], s[0:1], 0x0
	s_load_b64 s[8:9], s[0:1], 0x50
	s_load_b64 s[10:11], s[0:1], 0x18
	v_mul_u32_u24_e32 v1, 0x25f, v0
	v_mov_b32_e32 v3, 0
	v_mov_b32_e32 v4, 0
	s_delay_alu instid0(VALU_DEP_3) | instskip(SKIP_1) | instid1(VALU_DEP_1)
	v_lshrrev_b32_e32 v2, 16, v1
	v_mov_b32_e32 v1, 0
	v_dual_mov_b32 v6, v1 :: v_dual_add_nc_u32 v5, s15, v2
	s_waitcnt lgkmcnt(0)
	v_cmp_lt_u64_e64 s2, s[6:7], 2
	s_delay_alu instid0(VALU_DEP_1)
	s_and_b32 vcc_lo, exec_lo, s2
	s_cbranch_vccnz .LBB0_8
; %bb.1:
	s_load_b64 s[2:3], s[0:1], 0x10
	v_mov_b32_e32 v3, 0
	s_add_u32 s12, s10, 8
	v_mov_b32_e32 v4, 0
	s_addc_u32 s13, s11, 0
	s_mov_b64 s[16:17], 1
	s_waitcnt lgkmcnt(0)
	s_add_u32 s14, s2, 8
	s_addc_u32 s15, s3, 0
.LBB0_2:                                ; =>This Inner Loop Header: Depth=1
	s_load_b64 s[18:19], s[14:15], 0x0
                                        ; implicit-def: $vgpr7_vgpr8
	s_mov_b32 s2, exec_lo
	s_waitcnt lgkmcnt(0)
	v_or_b32_e32 v2, s19, v6
	s_delay_alu instid0(VALU_DEP_1)
	v_cmpx_ne_u64_e32 0, v[1:2]
	s_xor_b32 s3, exec_lo, s2
	s_cbranch_execz .LBB0_4
; %bb.3:                                ;   in Loop: Header=BB0_2 Depth=1
	v_cvt_f32_u32_e32 v2, s18
	v_cvt_f32_u32_e32 v7, s19
	s_sub_u32 s2, 0, s18
	s_subb_u32 s20, 0, s19
	s_delay_alu instid0(VALU_DEP_1) | instskip(NEXT) | instid1(VALU_DEP_1)
	v_fmac_f32_e32 v2, 0x4f800000, v7
	v_rcp_f32_e32 v2, v2
	s_waitcnt_depctr 0xfff
	v_mul_f32_e32 v2, 0x5f7ffffc, v2
	s_delay_alu instid0(VALU_DEP_1) | instskip(NEXT) | instid1(VALU_DEP_1)
	v_mul_f32_e32 v7, 0x2f800000, v2
	v_trunc_f32_e32 v7, v7
	s_delay_alu instid0(VALU_DEP_1) | instskip(SKIP_1) | instid1(VALU_DEP_2)
	v_fmac_f32_e32 v2, 0xcf800000, v7
	v_cvt_u32_f32_e32 v7, v7
	v_cvt_u32_f32_e32 v2, v2
	s_delay_alu instid0(VALU_DEP_2) | instskip(NEXT) | instid1(VALU_DEP_2)
	v_mul_lo_u32 v8, s2, v7
	v_mul_hi_u32 v9, s2, v2
	v_mul_lo_u32 v10, s20, v2
	s_delay_alu instid0(VALU_DEP_2) | instskip(SKIP_1) | instid1(VALU_DEP_2)
	v_add_nc_u32_e32 v8, v9, v8
	v_mul_lo_u32 v9, s2, v2
	v_add_nc_u32_e32 v8, v8, v10
	s_delay_alu instid0(VALU_DEP_2) | instskip(NEXT) | instid1(VALU_DEP_2)
	v_mul_hi_u32 v10, v2, v9
	v_mul_lo_u32 v11, v2, v8
	v_mul_hi_u32 v12, v2, v8
	v_mul_hi_u32 v13, v7, v9
	v_mul_lo_u32 v9, v7, v9
	v_mul_hi_u32 v14, v7, v8
	v_mul_lo_u32 v8, v7, v8
	v_add_co_u32 v10, vcc_lo, v10, v11
	v_add_co_ci_u32_e32 v11, vcc_lo, 0, v12, vcc_lo
	s_delay_alu instid0(VALU_DEP_2) | instskip(NEXT) | instid1(VALU_DEP_2)
	v_add_co_u32 v9, vcc_lo, v10, v9
	v_add_co_ci_u32_e32 v9, vcc_lo, v11, v13, vcc_lo
	v_add_co_ci_u32_e32 v10, vcc_lo, 0, v14, vcc_lo
	s_delay_alu instid0(VALU_DEP_2) | instskip(NEXT) | instid1(VALU_DEP_2)
	v_add_co_u32 v8, vcc_lo, v9, v8
	v_add_co_ci_u32_e32 v9, vcc_lo, 0, v10, vcc_lo
	s_delay_alu instid0(VALU_DEP_2) | instskip(NEXT) | instid1(VALU_DEP_2)
	v_add_co_u32 v2, vcc_lo, v2, v8
	v_add_co_ci_u32_e32 v7, vcc_lo, v7, v9, vcc_lo
	s_delay_alu instid0(VALU_DEP_2) | instskip(SKIP_1) | instid1(VALU_DEP_3)
	v_mul_hi_u32 v8, s2, v2
	v_mul_lo_u32 v10, s20, v2
	v_mul_lo_u32 v9, s2, v7
	s_delay_alu instid0(VALU_DEP_1) | instskip(SKIP_1) | instid1(VALU_DEP_2)
	v_add_nc_u32_e32 v8, v8, v9
	v_mul_lo_u32 v9, s2, v2
	v_add_nc_u32_e32 v8, v8, v10
	s_delay_alu instid0(VALU_DEP_2) | instskip(NEXT) | instid1(VALU_DEP_2)
	v_mul_hi_u32 v10, v2, v9
	v_mul_lo_u32 v11, v2, v8
	v_mul_hi_u32 v12, v2, v8
	v_mul_hi_u32 v13, v7, v9
	v_mul_lo_u32 v9, v7, v9
	v_mul_hi_u32 v14, v7, v8
	v_mul_lo_u32 v8, v7, v8
	v_add_co_u32 v10, vcc_lo, v10, v11
	v_add_co_ci_u32_e32 v11, vcc_lo, 0, v12, vcc_lo
	s_delay_alu instid0(VALU_DEP_2) | instskip(NEXT) | instid1(VALU_DEP_2)
	v_add_co_u32 v9, vcc_lo, v10, v9
	v_add_co_ci_u32_e32 v9, vcc_lo, v11, v13, vcc_lo
	v_add_co_ci_u32_e32 v10, vcc_lo, 0, v14, vcc_lo
	s_delay_alu instid0(VALU_DEP_2) | instskip(NEXT) | instid1(VALU_DEP_2)
	v_add_co_u32 v8, vcc_lo, v9, v8
	v_add_co_ci_u32_e32 v9, vcc_lo, 0, v10, vcc_lo
	s_delay_alu instid0(VALU_DEP_2) | instskip(NEXT) | instid1(VALU_DEP_2)
	v_add_co_u32 v2, vcc_lo, v2, v8
	v_add_co_ci_u32_e32 v13, vcc_lo, v7, v9, vcc_lo
	s_delay_alu instid0(VALU_DEP_2) | instskip(SKIP_1) | instid1(VALU_DEP_3)
	v_mul_hi_u32 v14, v5, v2
	v_mad_u64_u32 v[9:10], null, v6, v2, 0
	v_mad_u64_u32 v[7:8], null, v5, v13, 0
	;; [unrolled: 1-line block ×3, first 2 shown]
	s_delay_alu instid0(VALU_DEP_2) | instskip(NEXT) | instid1(VALU_DEP_3)
	v_add_co_u32 v2, vcc_lo, v14, v7
	v_add_co_ci_u32_e32 v7, vcc_lo, 0, v8, vcc_lo
	s_delay_alu instid0(VALU_DEP_2) | instskip(NEXT) | instid1(VALU_DEP_2)
	v_add_co_u32 v2, vcc_lo, v2, v9
	v_add_co_ci_u32_e32 v2, vcc_lo, v7, v10, vcc_lo
	v_add_co_ci_u32_e32 v7, vcc_lo, 0, v12, vcc_lo
	s_delay_alu instid0(VALU_DEP_2) | instskip(NEXT) | instid1(VALU_DEP_2)
	v_add_co_u32 v2, vcc_lo, v2, v11
	v_add_co_ci_u32_e32 v9, vcc_lo, 0, v7, vcc_lo
	s_delay_alu instid0(VALU_DEP_2) | instskip(SKIP_1) | instid1(VALU_DEP_3)
	v_mul_lo_u32 v10, s19, v2
	v_mad_u64_u32 v[7:8], null, s18, v2, 0
	v_mul_lo_u32 v11, s18, v9
	s_delay_alu instid0(VALU_DEP_2) | instskip(NEXT) | instid1(VALU_DEP_2)
	v_sub_co_u32 v7, vcc_lo, v5, v7
	v_add3_u32 v8, v8, v11, v10
	s_delay_alu instid0(VALU_DEP_1) | instskip(NEXT) | instid1(VALU_DEP_1)
	v_sub_nc_u32_e32 v10, v6, v8
	v_subrev_co_ci_u32_e64 v10, s2, s19, v10, vcc_lo
	v_add_co_u32 v11, s2, v2, 2
	s_delay_alu instid0(VALU_DEP_1) | instskip(SKIP_3) | instid1(VALU_DEP_3)
	v_add_co_ci_u32_e64 v12, s2, 0, v9, s2
	v_sub_co_u32 v13, s2, v7, s18
	v_sub_co_ci_u32_e32 v8, vcc_lo, v6, v8, vcc_lo
	v_subrev_co_ci_u32_e64 v10, s2, 0, v10, s2
	v_cmp_le_u32_e32 vcc_lo, s18, v13
	s_delay_alu instid0(VALU_DEP_3) | instskip(SKIP_1) | instid1(VALU_DEP_4)
	v_cmp_eq_u32_e64 s2, s19, v8
	v_cndmask_b32_e64 v13, 0, -1, vcc_lo
	v_cmp_le_u32_e32 vcc_lo, s19, v10
	v_cndmask_b32_e64 v14, 0, -1, vcc_lo
	v_cmp_le_u32_e32 vcc_lo, s18, v7
	;; [unrolled: 2-line block ×3, first 2 shown]
	v_cndmask_b32_e64 v15, 0, -1, vcc_lo
	v_cmp_eq_u32_e32 vcc_lo, s19, v10
	s_delay_alu instid0(VALU_DEP_2) | instskip(SKIP_3) | instid1(VALU_DEP_3)
	v_cndmask_b32_e64 v7, v15, v7, s2
	v_cndmask_b32_e32 v10, v14, v13, vcc_lo
	v_add_co_u32 v13, vcc_lo, v2, 1
	v_add_co_ci_u32_e32 v14, vcc_lo, 0, v9, vcc_lo
	v_cmp_ne_u32_e32 vcc_lo, 0, v10
	s_delay_alu instid0(VALU_DEP_2) | instskip(NEXT) | instid1(VALU_DEP_4)
	v_cndmask_b32_e32 v8, v14, v12, vcc_lo
	v_cndmask_b32_e32 v10, v13, v11, vcc_lo
	v_cmp_ne_u32_e32 vcc_lo, 0, v7
	s_delay_alu instid0(VALU_DEP_2)
	v_dual_cndmask_b32 v7, v2, v10 :: v_dual_cndmask_b32 v8, v9, v8
.LBB0_4:                                ;   in Loop: Header=BB0_2 Depth=1
	s_and_not1_saveexec_b32 s2, s3
	s_cbranch_execz .LBB0_6
; %bb.5:                                ;   in Loop: Header=BB0_2 Depth=1
	v_cvt_f32_u32_e32 v2, s18
	s_sub_i32 s3, 0, s18
	s_delay_alu instid0(VALU_DEP_1) | instskip(SKIP_2) | instid1(VALU_DEP_1)
	v_rcp_iflag_f32_e32 v2, v2
	s_waitcnt_depctr 0xfff
	v_mul_f32_e32 v2, 0x4f7ffffe, v2
	v_cvt_u32_f32_e32 v2, v2
	s_delay_alu instid0(VALU_DEP_1) | instskip(NEXT) | instid1(VALU_DEP_1)
	v_mul_lo_u32 v7, s3, v2
	v_mul_hi_u32 v7, v2, v7
	s_delay_alu instid0(VALU_DEP_1) | instskip(NEXT) | instid1(VALU_DEP_1)
	v_add_nc_u32_e32 v2, v2, v7
	v_mul_hi_u32 v2, v5, v2
	s_delay_alu instid0(VALU_DEP_1) | instskip(SKIP_1) | instid1(VALU_DEP_2)
	v_mul_lo_u32 v7, v2, s18
	v_add_nc_u32_e32 v8, 1, v2
	v_sub_nc_u32_e32 v7, v5, v7
	s_delay_alu instid0(VALU_DEP_1) | instskip(SKIP_1) | instid1(VALU_DEP_2)
	v_subrev_nc_u32_e32 v9, s18, v7
	v_cmp_le_u32_e32 vcc_lo, s18, v7
	v_dual_cndmask_b32 v7, v7, v9 :: v_dual_cndmask_b32 v2, v2, v8
	s_delay_alu instid0(VALU_DEP_1) | instskip(NEXT) | instid1(VALU_DEP_2)
	v_cmp_le_u32_e32 vcc_lo, s18, v7
	v_add_nc_u32_e32 v8, 1, v2
	s_delay_alu instid0(VALU_DEP_1)
	v_dual_cndmask_b32 v7, v2, v8 :: v_dual_mov_b32 v8, v1
.LBB0_6:                                ;   in Loop: Header=BB0_2 Depth=1
	s_or_b32 exec_lo, exec_lo, s2
	s_load_b64 s[2:3], s[12:13], 0x0
	s_delay_alu instid0(VALU_DEP_1) | instskip(NEXT) | instid1(VALU_DEP_2)
	v_mul_lo_u32 v2, v8, s18
	v_mul_lo_u32 v11, v7, s19
	v_mad_u64_u32 v[9:10], null, v7, s18, 0
	s_add_u32 s16, s16, 1
	s_addc_u32 s17, s17, 0
	s_add_u32 s12, s12, 8
	s_addc_u32 s13, s13, 0
	;; [unrolled: 2-line block ×3, first 2 shown]
	s_delay_alu instid0(VALU_DEP_1) | instskip(SKIP_1) | instid1(VALU_DEP_2)
	v_add3_u32 v2, v10, v11, v2
	v_sub_co_u32 v9, vcc_lo, v5, v9
	v_sub_co_ci_u32_e32 v2, vcc_lo, v6, v2, vcc_lo
	s_waitcnt lgkmcnt(0)
	s_delay_alu instid0(VALU_DEP_2) | instskip(NEXT) | instid1(VALU_DEP_2)
	v_mul_lo_u32 v10, s3, v9
	v_mul_lo_u32 v2, s2, v2
	v_mad_u64_u32 v[5:6], null, s2, v9, v[3:4]
	v_cmp_ge_u64_e64 s2, s[16:17], s[6:7]
	s_delay_alu instid0(VALU_DEP_1) | instskip(NEXT) | instid1(VALU_DEP_2)
	s_and_b32 vcc_lo, exec_lo, s2
	v_add3_u32 v4, v10, v6, v2
	s_delay_alu instid0(VALU_DEP_3)
	v_mov_b32_e32 v3, v5
	s_cbranch_vccnz .LBB0_9
; %bb.7:                                ;   in Loop: Header=BB0_2 Depth=1
	v_dual_mov_b32 v5, v7 :: v_dual_mov_b32 v6, v8
	s_branch .LBB0_2
.LBB0_8:
	v_dual_mov_b32 v8, v6 :: v_dual_mov_b32 v7, v5
.LBB0_9:
	s_lshl_b64 s[2:3], s[6:7], 3
                                        ; implicit-def: $vgpr64_vgpr65
                                        ; implicit-def: $vgpr76_vgpr77
                                        ; implicit-def: $vgpr84_vgpr85
                                        ; implicit-def: $vgpr68_vgpr69
                                        ; implicit-def: $vgpr80_vgpr81
                                        ; implicit-def: $vgpr96_vgpr97
                                        ; implicit-def: $vgpr72_vgpr73
                                        ; implicit-def: $vgpr92_vgpr93
                                        ; implicit-def: $vgpr88_vgpr89
                                        ; implicit-def: $vgpr56_vgpr57
                                        ; implicit-def: $vgpr100_vgpr101
                                        ; implicit-def: $vgpr52_vgpr53
                                        ; implicit-def: $vgpr36_vgpr37
                                        ; implicit-def: $vgpr104_vgpr105
                                        ; implicit-def: $vgpr48_vgpr49
                                        ; implicit-def: $vgpr28_vgpr29
                                        ; implicit-def: $vgpr24_vgpr25
                                        ; implicit-def: $vgpr40_vgpr41
                                        ; implicit-def: $vgpr32_vgpr33
                                        ; implicit-def: $vgpr16_vgpr17
                                        ; implicit-def: $vgpr44_vgpr45
                                        ; implicit-def: $vgpr60_vgpr61
                                        ; implicit-def: $vgpr108_vgpr109
                                        ; implicit-def: $vgpr20_vgpr21
                                        ; implicit-def: $vgpr116_vgpr117
                                        ; implicit-def: $vgpr120_vgpr121
                                        ; implicit-def: $vgpr12_vgpr13
                                        ; implicit-def: $vgpr112_vgpr113
	s_delay_alu instid0(SALU_CYCLE_1)
	s_add_u32 s2, s10, s2
	s_addc_u32 s3, s11, s3
	s_load_b64 s[2:3], s[2:3], 0x0
	s_load_b64 s[0:1], s[0:1], 0x20
	s_waitcnt lgkmcnt(0)
	v_mul_lo_u32 v5, s2, v8
	v_mul_lo_u32 v6, s3, v7
	v_mad_u64_u32 v[1:2], null, s2, v7, v[3:4]
	v_mul_hi_u32 v3, 0x25ed098, v0
	v_cmp_gt_u64_e32 vcc_lo, s[0:1], v[7:8]
                                        ; implicit-def: $vgpr8_vgpr9
	s_delay_alu instid0(VALU_DEP_3) | instskip(NEXT) | instid1(VALU_DEP_3)
	v_add3_u32 v2, v6, v2, v5
                                        ; implicit-def: $vgpr4_vgpr5
	v_mul_u32_u24_e32 v3, 0x6c, v3
	s_delay_alu instid0(VALU_DEP_2) | instskip(NEXT) | instid1(VALU_DEP_2)
	v_lshlrev_b64 v[172:173], 4, v[1:2]
	v_sub_nc_u32_e32 v174, v0, v3
	s_and_saveexec_b32 s1, vcc_lo
	s_cbranch_execz .LBB0_11
; %bb.10:
	v_mov_b32_e32 v175, 0
	s_delay_alu instid0(VALU_DEP_3) | instskip(NEXT) | instid1(VALU_DEP_1)
	v_add_co_u32 v2, s0, s8, v172
	v_add_co_ci_u32_e64 v3, s0, s9, v173, s0
	s_delay_alu instid0(VALU_DEP_3) | instskip(NEXT) | instid1(VALU_DEP_1)
	v_lshlrev_b64 v[0:1], 4, v[174:175]
	v_add_co_u32 v0, s0, v2, v0
	s_delay_alu instid0(VALU_DEP_1) | instskip(NEXT) | instid1(VALU_DEP_2)
	v_add_co_ci_u32_e64 v1, s0, v3, v1, s0
	v_add_co_u32 v62, s0, 0x4000, v0
	s_delay_alu instid0(VALU_DEP_1) | instskip(SKIP_1) | instid1(VALU_DEP_1)
	v_add_co_ci_u32_e64 v63, s0, 0, v1, s0
	v_add_co_u32 v64, s0, 0x8000, v0
	v_add_co_ci_u32_e64 v65, s0, 0, v1, s0
	v_add_co_u32 v22, s0, 0x5000, v0
	s_delay_alu instid0(VALU_DEP_1) | instskip(SKIP_1) | instid1(VALU_DEP_1)
	v_add_co_ci_u32_e64 v23, s0, 0, v1, s0
	v_add_co_u32 v24, s0, 0x9000, v0
	v_add_co_ci_u32_e64 v25, s0, 0, v1, s0
	v_add_co_u32 v26, s0, 0x1000, v0
	s_delay_alu instid0(VALU_DEP_1) | instskip(SKIP_1) | instid1(VALU_DEP_1)
	v_add_co_ci_u32_e64 v27, s0, 0, v1, s0
	v_add_co_u32 v54, s0, 0xa000, v0
	v_add_co_ci_u32_e64 v55, s0, 0, v1, s0
	v_add_co_u32 v66, s0, 0x2000, v0
	s_delay_alu instid0(VALU_DEP_1) | instskip(SKIP_1) | instid1(VALU_DEP_1)
	v_add_co_ci_u32_e64 v67, s0, 0, v1, s0
	v_add_co_u32 v68, s0, 0x6000, v0
	v_add_co_ci_u32_e64 v69, s0, 0, v1, s0
	v_add_co_u32 v70, s0, 0x7000, v0
	s_delay_alu instid0(VALU_DEP_1) | instskip(SKIP_1) | instid1(VALU_DEP_1)
	v_add_co_ci_u32_e64 v71, s0, 0, v1, s0
	v_add_co_u32 v82, s0, 0xb000, v0
	v_add_co_ci_u32_e64 v83, s0, 0, v1, s0
	v_add_co_u32 v84, s0, 0x3000, v0
	s_delay_alu instid0(VALU_DEP_1)
	v_add_co_ci_u32_e64 v85, s0, 0, v1, s0
	s_clause 0x3
	global_load_b128 v[2:5], v[0:1], off
	global_load_b128 v[10:13], v[0:1], off offset:1728
	global_load_b128 v[6:9], v[62:63], off offset:896
	;; [unrolled: 1-line block ×3, first 2 shown]
	v_add_co_u32 v0, s0, 0xc000, v0
	s_clause 0xb
	global_load_b128 v[106:109], v[22:23], off offset:256
	global_load_b128 v[14:17], v[22:23], off offset:1984
	;; [unrolled: 1-line block ×12, first 2 shown]
	v_add_co_ci_u32_e64 v1, s0, 0, v1, s0
	s_clause 0xd
	global_load_b128 v[102:105], v[68:69], off offset:1344
	global_load_b128 v[86:89], v[66:67], off offset:3904
	;; [unrolled: 1-line block ×14, first 2 shown]
.LBB0_11:
	s_or_b32 exec_lo, exec_lo, s1
	s_waitcnt vmcnt(5)
	v_add_f64 v[0:1], v[114:115], v[118:119]
	v_add_f64 v[122:123], v[58:59], v[106:107]
	;; [unrolled: 1-line block ×8, first 2 shown]
	s_waitcnt vmcnt(3)
	v_add_f64 v[136:137], v[66:67], v[78:79]
	s_waitcnt vmcnt(0)
	v_add_f64 v[138:139], v[62:63], v[74:75]
	v_add_f64 v[140:141], v[118:119], v[10:11]
	v_add_f64 v[142:143], v[120:121], -v[116:117]
	v_add_f64 v[152:153], v[22:23], v[38:39]
	v_add_f64 v[162:163], v[98:99], v[50:51]
	v_add_f64 v[144:145], v[106:107], v[18:19]
	v_add_f64 v[146:147], v[108:109], -v[60:61]
	v_add_f64 v[158:159], v[6:7], v[2:3]
	;; [unrolled: 4-line block ×3, first 2 shown]
	v_add_f64 v[166:167], v[78:79], v[94:95]
	v_add_f64 v[154:155], v[24:25], -v[28:29]
	v_add_f64 v[156:157], v[8:9], -v[112:113]
	s_mov_b32 s2, 0xe8584caa
	s_mov_b32 s3, 0x3febb67a
	v_add_f64 v[118:119], v[118:119], -v[114:115]
	v_add_f64 v[106:107], v[106:107], -v[58:59]
	s_mov_b32 s7, 0xbfebb67a
	s_mov_b32 s6, s2
	v_add_f64 v[102:103], v[102:103], -v[34:35]
	v_add_f64 v[98:99], v[98:99], -v[54:55]
	v_add_nc_u16 v203, v174, 0x6c
	v_lshl_add_u32 v183, v174, 3, 0
	v_add_nc_u32_e32 v202, 0xd8, v174
	v_add_nc_u32_e32 v200, 0x144, v174
	;; [unrolled: 1-line block ×3, first 2 shown]
	v_and_b32_e32 v205, 0xff, v203
	v_fma_f64 v[0:1], v[0:1], -0.5, v[10:11]
	v_fma_f64 v[10:11], v[122:123], -0.5, v[18:19]
	;; [unrolled: 1-line block ×5, first 2 shown]
	v_add_f64 v[122:123], v[104:105], -v[36:37]
	v_fma_f64 v[46:47], v[130:131], -0.5, v[46:47]
	v_add_f64 v[124:125], v[100:101], -v[56:57]
	v_fma_f64 v[50:51], v[132:133], -0.5, v[50:51]
	;; [unrolled: 2-line block ×3, first 2 shown]
	v_add_f64 v[128:129], v[80:81], -v[68:69]
	v_add_f64 v[130:131], v[74:75], v[82:83]
	v_fma_f64 v[94:95], v[136:137], -0.5, v[94:95]
	v_add_f64 v[132:133], v[76:77], -v[64:65]
	v_fma_f64 v[134:135], v[138:139], -0.5, v[82:83]
	v_add_f64 v[136:137], v[108:109], v[20:21]
	v_add_f64 v[108:109], v[60:61], v[108:109]
	;; [unrolled: 1-line block ×13, first 2 shown]
	v_mad_u32_u24 v82, v174, 24, 0
	v_add_f64 v[66:67], v[78:79], -v[66:67]
	v_add_f64 v[70:71], v[90:91], -v[70:71]
	v_add_nc_u32_e32 v184, 0x2000, v183
	v_add_nc_u32_e32 v185, 0x4000, v183
	;; [unrolled: 1-line block ×6, first 2 shown]
	v_fma_f64 v[162:163], v[142:143], s[2:3], v[0:1]
	v_fma_f64 v[164:165], v[146:147], s[2:3], v[10:11]
	;; [unrolled: 1-line block ×16, first 2 shown]
	v_add_f64 v[126:127], v[62:63], v[130:131]
	v_fma_f64 v[130:131], v[128:129], s[2:3], v[94:95]
	v_fma_f64 v[94:95], v[128:129], s[6:7], v[94:95]
	v_fma_f64 v[128:129], v[132:133], s[2:3], v[134:135]
	v_fma_f64 v[132:133], v[132:133], s[6:7], v[134:135]
	v_add_f64 v[134:135], v[112:113], v[8:9]
	v_add_f64 v[146:147], v[32:33], v[16:17]
	;; [unrolled: 1-line block ×3, first 2 shown]
	v_add_nc_u32_e32 v156, 0xa20, v82
	v_add_nc_u32_e32 v157, 0x1440, v82
	;; [unrolled: 1-line block ×3, first 2 shown]
	v_fma_f64 v[108:109], v[108:109], -0.5, v[20:21]
	v_add_f64 v[20:21], v[64:65], v[76:77]
	v_add_f64 v[154:155], v[36:37], v[104:105]
	v_fma_f64 v[120:121], v[120:121], -0.5, v[12:13]
	v_add_f64 v[12:13], v[72:73], v[92:93]
	v_add_nc_u32_e32 v180, 0x5108, v82
	v_add_nc_u32_e32 v181, 0x5b28, v82
	v_add_f64 v[16:17], v[16:17], v[44:45]
	v_add_f64 v[104:105], v[104:105], v[48:49]
	;; [unrolled: 1-line block ×4, first 2 shown]
	ds_store_2addr_b64 v156, v[114:115], v[162:163] offset1:1
	ds_store_2addr_b64 v157, v[58:59], v[164:165] offset1:1
	ds_store_2addr_b64 v175, v[138:139], v[166:167] offset1:1
	ds_store_2addr_b64 v176, v[140:141], v[168:169] offset1:1
	ds_store_2addr_b64 v82, v[144:145], v[170:171] offset1:1
	ds_store_b64 v82, v[2:3] offset:16
	ds_store_b64 v82, v[0:1] offset:2608
	;; [unrolled: 1-line block ×6, first 2 shown]
	ds_store_2addr_b64 v177, v[142:143], v[46:47] offset1:1
	ds_store_b64 v82, v[152:153] offset:15552
	ds_store_2addr_b64 v178, v[122:123], v[50:51] offset1:1
	ds_store_b64 v82, v[158:159] offset:18144
	;; [unrolled: 2-line block ×3, first 2 shown]
	v_add_f64 v[18:19], v[68:69], v[80:81]
	v_add_f64 v[10:11], v[56:57], v[100:101]
	;; [unrolled: 1-line block ×3, first 2 shown]
	v_add_f64 v[58:59], v[6:7], -v[110:111]
	ds_store_2addr_b64 v180, v[130:131], v[94:95] offset1:1
	ds_store_b64 v82, v[126:127] offset:23328
	ds_store_2addr_b64 v181, v[128:129], v[132:133] offset1:1
	v_add_f64 v[94:95], v[14:15], -v[30:31]
	v_add_f64 v[14:15], v[24:25], v[40:41]
	v_fma_f64 v[86:87], v[134:135], -0.5, v[4:5]
	v_fma_f64 v[110:111], v[146:147], -0.5, v[44:45]
	v_add_f64 v[114:115], v[22:23], -v[26:27]
	v_fma_f64 v[122:123], v[150:151], -0.5, v[40:41]
	v_add_f64 v[100:101], v[100:101], v[52:53]
	v_add_f64 v[80:81], v[80:81], v[96:97]
	v_add_f64 v[62:63], v[74:75], -v[62:63]
	v_fma_f64 v[74:75], v[20:21], -0.5, v[84:85]
	v_fma_f64 v[124:125], v[154:155], -0.5, v[48:49]
	v_add_f64 v[116:117], v[116:117], v[42:43]
	v_fma_f64 v[88:89], v[12:13], -0.5, v[88:89]
	v_fma_f64 v[83:84], v[118:119], s[6:7], v[120:121]
	v_add_f64 v[60:61], v[60:61], v[136:137]
	v_add_f64 v[128:129], v[32:33], v[16:17]
	v_and_b32_e32 v136, 0xff, v174
	v_fma_f64 v[118:119], v[118:119], s[2:3], v[120:121]
	v_add_f64 v[104:105], v[36:37], v[104:105]
	v_add_f64 v[72:73], v[72:73], v[92:93]
	v_fma_f64 v[78:79], v[18:19], -0.5, v[96:97]
	v_fma_f64 v[126:127], v[10:11], -0.5, v[52:53]
	v_add_f64 v[90:91], v[112:113], v[38:39]
	v_fma_f64 v[112:113], v[106:107], s[6:7], v[108:109]
	v_add_f64 v[64:65], v[64:65], v[76:77]
	v_fma_f64 v[106:107], v[106:107], s[2:3], v[108:109]
	v_add_nc_u32_e32 v190, 0x1000, v183
	v_add_nc_u32_e32 v186, 0x5400, v183
	;; [unrolled: 1-line block ×10, first 2 shown]
	s_waitcnt lgkmcnt(0)
	s_barrier
	buffer_gl0_inv
	v_add_f64 v[130:131], v[28:29], v[14:15]
	v_fma_f64 v[96:97], v[58:59], s[6:7], v[86:87]
	v_fma_f64 v[85:86], v[58:59], s[2:3], v[86:87]
	;; [unrolled: 1-line block ×4, first 2 shown]
	v_add_f64 v[100:101], v[56:57], v[100:101]
	v_add_f64 v[68:69], v[68:69], v[80:81]
	v_fma_f64 v[94:95], v[94:95], s[2:3], v[110:111]
	v_fma_f64 v[76:77], v[62:63], s[6:7], v[74:75]
	;; [unrolled: 1-line block ×8, first 2 shown]
	v_mul_lo_u16 v74, 0xab, v136
	v_mul_lo_u16 v75, 0xab, v205
	ds_load_2addr_b64 v[0:3], v183 offset1:108
	v_add_nc_u32_e32 v194, 0x2c00, v183
	v_fma_f64 v[80:81], v[66:67], s[6:7], v[78:79]
	v_fma_f64 v[66:67], v[66:67], s[2:3], v[78:79]
	;; [unrolled: 1-line block ×4, first 2 shown]
	v_lshrrev_b16 v139, 9, v74
	v_add_nc_u32_e32 v193, 0x5000, v183
	ds_load_2addr_b64 v[52:55], v184 offset0:56 offset1:164
	ds_load_2addr_b64 v[48:51], v185 offset0:112 offset1:220
	;; [unrolled: 1-line block ×14, first 2 shown]
	s_waitcnt lgkmcnt(0)
	s_barrier
	buffer_gl0_inv
	ds_store_2addr_b64 v82, v[90:91], v[96:97] offset1:1
	ds_store_b64 v82, v[85:86] offset:16
	ds_store_2addr_b64 v156, v[116:117], v[83:84] offset1:1
	ds_store_2addr_b64 v157, v[60:61], v[112:113] offset1:1
	;; [unrolled: 1-line block ×4, first 2 shown]
	v_lshrrev_b16 v137, 9, v75
	v_mul_lo_u16 v60, v139, 3
	v_and_b32_e32 v204, 0xffff, v202
	v_and_b32_e32 v201, 0xffff, v200
	;; [unrolled: 1-line block ×3, first 2 shown]
	v_mul_lo_u16 v61, v137, 3
	v_sub_nc_u16 v60, v174, v60
	ds_store_b64 v82, v[118:119] offset:2608
	ds_store_b64 v82, v[106:107] offset:5200
	;; [unrolled: 1-line block ×5, first 2 shown]
	ds_store_2addr_b64 v177, v[110:111], v[102:103] offset1:1
	v_add_nc_u32_e32 v94, 0x288, v174
	v_sub_nc_u16 v61, v203, v61
	v_and_b32_e32 v138, 0xff, v60
	v_mul_u32_u24_e32 v60, 0xaaab, v204
	v_add_nc_u32_e32 v95, 0x2f4, v174
	ds_store_b64 v82, v[100:101] offset:15552
	ds_store_2addr_b64 v178, v[114:115], v[98:99] offset1:1
	v_and_b32_e32 v140, 0xff, v61
	v_mul_u32_u24_e32 v61, 0xaaab, v201
	v_lshrrev_b32_e32 v143, 17, v60
	v_lshlrev_b32_e32 v60, 5, v138
	ds_store_b64 v82, v[72:73] offset:18144
	ds_store_2addr_b64 v179, v[92:93], v[70:71] offset1:1
	ds_store_b64 v82, v[68:69] offset:20736
	v_lshrrev_b32_e32 v144, 17, v61
	v_mul_lo_u16 v61, v143, 3
	ds_store_2addr_b64 v180, v[80:81], v[66:67] offset1:1
	ds_store_b64 v82, v[64:65] offset:23328
	ds_store_2addr_b64 v181, v[76:77], v[62:63] offset1:1
	v_mul_u32_u24_e32 v62, 0xaaab, v199
	v_mul_lo_u16 v63, v144, 3
	v_sub_nc_u16 v61, v202, v61
	s_waitcnt lgkmcnt(0)
	s_barrier
	v_lshlrev_b32_e32 v64, 5, v140
	buffer_gl0_inv
	global_load_b128 v[80:83], v60, s[4:5]
	v_lshrrev_b32_e32 v145, 17, v62
	v_sub_nc_u16 v65, v200, v63
	v_and_b32_e32 v141, 0xffff, v61
	s_clause 0x1
	global_load_b128 v[60:63], v60, s[4:5] offset:16
	global_load_b128 v[76:79], v64, s[4:5]
	v_add_nc_u32_e32 v92, 0x21c, v174
	v_mul_lo_u16 v68, v145, 3
	v_and_b32_e32 v142, 0xffff, v65
	global_load_b128 v[64:67], v64, s[4:5] offset:16
	v_lshlrev_b32_e32 v69, 5, v141
	v_and_b32_e32 v93, 0xffff, v92
	v_sub_nc_u16 v84, v198, v68
	v_lshlrev_b32_e32 v85, 5, v142
	v_and_b32_e32 v96, 0xffff, v94
	v_and_b32_e32 v97, 0xffff, v95
	v_mul_u32_u24_e32 v93, 0xaaab, v93
	v_add_nc_u32_e32 v98, 0x360, v174
	s_clause 0x1
	global_load_b128 v[72:75], v69, s[4:5]
	global_load_b128 v[68:71], v69, s[4:5] offset:16
	v_add_nc_u32_e32 v101, 0x3cc, v174
	v_and_b32_e32 v146, 0xffff, v84
	s_clause 0x1
	global_load_b128 v[88:91], v85, s[4:5]
	global_load_b128 v[84:87], v85, s[4:5] offset:16
	v_lshrrev_b32_e32 v164, 17, v93
	v_mul_u32_u24_e32 v93, 0xaaab, v96
	v_mul_u32_u24_e32 v96, 0xaaab, v97
	v_and_b32_e32 v97, 0xffff, v98
	v_and_b32_e32 v102, 0xffff, v101
	v_mul_lo_u16 v99, v164, 3
	v_lshrrev_b32_e32 v165, 17, v93
	v_lshrrev_b32_e32 v216, 17, v96
	v_mul_u32_u24_e32 v93, 0xaaab, v97
	v_mul_u32_u24_e32 v96, 0xaaab, v102
	v_sub_nc_u16 v92, v92, v99
	v_mul_lo_u16 v97, v165, 3
	v_mul_lo_u16 v99, v216, 3
	v_lshrrev_b32_e32 v217, 17, v93
	v_lshrrev_b32_e32 v147, 17, v96
	v_and_b32_e32 v168, 0xffff, v92
	v_sub_nc_u16 v92, v94, v97
	v_sub_nc_u16 v93, v95, v99
	v_mul_lo_u16 v94, v217, 3
	v_mul_lo_u16 v103, v147, 3
	v_lshlrev_b32_e32 v100, 5, v146
	v_and_b32_e32 v220, 0xffff, v92
	v_and_b32_e32 v221, 0xffff, v93
	v_sub_nc_u16 v104, v98, v94
	v_sub_nc_u16 v108, v101, v103
	v_lshlrev_b32_e32 v102, 5, v168
	v_lshlrev_b32_e32 v109, 5, v220
	s_clause 0x1
	global_load_b128 v[96:99], v100, s[4:5]
	global_load_b128 v[92:95], v100, s[4:5] offset:16
	v_and_b32_e32 v222, 0xffff, v104
	v_lshlrev_b32_e32 v116, 5, v221
	v_and_b32_e32 v223, 0xffff, v108
	s_clause 0x3
	global_load_b128 v[104:107], v102, s[4:5]
	global_load_b128 v[100:103], v102, s[4:5] offset:16
	global_load_b128 v[112:115], v109, s[4:5]
	global_load_b128 v[108:111], v109, s[4:5] offset:16
	v_lshlrev_b32_e32 v132, 5, v222
	global_load_b128 v[124:127], v116, s[4:5]
	v_lshlrev_b32_e32 v148, 5, v223
	s_clause 0x4
	global_load_b128 v[116:119], v116, s[4:5] offset:16
	global_load_b128 v[120:123], v132, s[4:5]
	global_load_b128 v[128:131], v148, s[4:5]
	global_load_b128 v[132:135], v132, s[4:5] offset:16
	global_load_b128 v[148:151], v148, s[4:5] offset:16
	ds_load_2addr_b64 v[152:155], v184 offset0:56 offset1:164
	ds_load_2addr_b64 v[156:159], v185 offset0:112 offset1:220
	;; [unrolled: 1-line block ×3, first 2 shown]
	v_and_b32_e32 v139, 0xffff, v139
	v_mul_u32_u24_e32 v218, 0x48, v145
	v_lshlrev_b32_e32 v225, 3, v146
	v_lshlrev_b32_e32 v138, 3, v138
	v_mul_u32_u24_e32 v219, 0x48, v164
	v_mul_u32_u24_e32 v139, 0x48, v139
	;; [unrolled: 1-line block ×3, first 2 shown]
	ds_load_2addr_b64 v[164:167], v189 offset0:72 offset1:180
	v_lshlrev_b32_e32 v226, 3, v168
	v_mul_u32_u24_e32 v147, 0x48, v147
	v_add3_u32 v234, 0, v139, v138
	v_lshlrev_b32_e32 v138, 3, v142
	v_lshlrev_b32_e32 v220, 3, v220
	;; [unrolled: 1-line block ×4, first 2 shown]
	s_mov_b32 s14, 0x134454ff
	s_mov_b32 s15, 0x3fee6f0e
	v_add3_u32 v236, 0, v224, v220
	s_mov_b32 s1, 0xbfee6f0e
	s_mov_b32 s0, s14
	;; [unrolled: 1-line block ×10, first 2 shown]
	s_waitcnt vmcnt(19) lgkmcnt(3)
	v_mul_f64 v[175:176], v[152:153], v[82:83]
	v_mul_f64 v[82:83], v[52:53], v[82:83]
	s_waitcnt vmcnt(18) lgkmcnt(2)
	v_mul_f64 v[181:182], v[156:157], v[62:63]
	s_waitcnt vmcnt(17)
	v_mul_f64 v[177:178], v[154:155], v[78:79]
	v_mul_f64 v[179:180], v[54:55], v[78:79]
	;; [unrolled: 1-line block ×3, first 2 shown]
	v_and_b32_e32 v78, 0xffff, v137
	s_waitcnt vmcnt(16)
	v_mul_f64 v[208:209], v[158:159], v[66:67]
	v_mul_f64 v[66:67], v[50:51], v[66:67]
	v_mul_u32_u24_e32 v137, 0x48, v144
	v_lshlrev_b32_e32 v63, 3, v140
	v_mul_u32_u24_e32 v62, 0x48, v78
	v_mul_u32_u24_e32 v79, 0x48, v143
	v_lshlrev_b32_e32 v78, 3, v141
	s_waitcnt vmcnt(15) lgkmcnt(1)
	v_mul_f64 v[145:146], v[160:161], v[74:75]
	v_mul_f64 v[210:211], v[44:45], v[74:75]
	v_add3_u32 v235, 0, v62, v63
	s_waitcnt vmcnt(13)
	v_mul_f64 v[212:213], v[162:163], v[90:91]
	v_add3_u32 v62, 0, v137, v138
	ds_load_2addr_b64 v[137:140], v194 offset0:104 offset1:212
	ds_load_2addr_b64 v[141:144], v193 offset0:32 offset1:140
	;; [unrolled: 1-line block ×3, first 2 shown]
	v_add3_u32 v63, 0, v79, v78
	v_mul_f64 v[90:91], v[46:47], v[90:91]
	s_waitcnt lgkmcnt(3)
	v_mul_f64 v[214:215], v[164:165], v[70:71]
	v_mul_f64 v[70:71], v[40:41], v[70:71]
	v_fma_f64 v[175:176], v[52:53], v[80:81], -v[175:176]
	v_fma_f64 v[82:83], v[152:153], v[80:81], v[82:83]
	ds_load_2addr_b64 v[78:81], v186 offset0:120 offset1:228
	v_fma_f64 v[48:49], v[48:49], v[60:61], -v[181:182]
	v_fma_f64 v[54:55], v[54:55], v[76:77], -v[177:178]
	v_fma_f64 v[179:180], v[154:155], v[76:77], v[179:180]
	ds_load_2addr_b64 v[74:77], v196 offset0:24 offset1:132
	ds_load_2addr_b64 v[152:155], v197 offset0:80 offset1:188
	s_waitcnt vmcnt(12)
	v_mul_f64 v[177:178], v[166:167], v[86:87]
	v_mul_f64 v[86:87], v[42:43], v[86:87]
	v_fma_f64 v[60:61], v[156:157], v[60:61], v[206:207]
	s_waitcnt vmcnt(11) lgkmcnt(5)
	v_mul_f64 v[156:157], v[137:138], v[98:99]
	s_waitcnt vmcnt(10) lgkmcnt(4)
	v_mul_f64 v[206:207], v[141:142], v[94:95]
	s_waitcnt vmcnt(9)
	v_mul_f64 v[181:182], v[139:140], v[106:107]
	v_fma_f64 v[50:51], v[50:51], v[64:65], -v[208:209]
	s_waitcnt vmcnt(8)
	v_mul_f64 v[208:209], v[143:144], v[102:103]
	v_add3_u32 v53, 0, v218, v225
	v_add3_u32 v52, 0, v219, v226
	v_mul_u32_u24_e32 v225, 0x48, v216
	v_mul_u32_u24_e32 v226, 0x48, v217
	v_fma_f64 v[64:65], v[158:159], v[64:65], v[66:67]
	s_waitcnt vmcnt(7) lgkmcnt(3)
	v_mul_f64 v[66:67], v[168:169], v[114:115]
	s_waitcnt vmcnt(6) lgkmcnt(2)
	v_mul_f64 v[216:217], v[78:79], v[110:111]
	s_waitcnt vmcnt(5)
	v_mul_f64 v[158:159], v[170:171], v[126:127]
	s_waitcnt vmcnt(4)
	v_mul_f64 v[218:219], v[80:81], v[118:119]
	v_fma_f64 v[44:45], v[44:45], v[72:73], -v[145:146]
	v_fma_f64 v[72:73], v[160:161], v[72:73], v[210:211]
	s_waitcnt vmcnt(3) lgkmcnt(1)
	v_mul_f64 v[145:146], v[74:75], v[122:123]
	s_waitcnt vmcnt(1) lgkmcnt(0)
	v_mul_f64 v[210:211], v[152:153], v[134:135]
	v_mul_f64 v[160:161], v[76:77], v[130:131]
	v_fma_f64 v[46:47], v[46:47], v[88:89], -v[212:213]
	s_waitcnt vmcnt(0)
	v_mul_f64 v[212:213], v[154:155], v[150:151]
	v_fma_f64 v[88:89], v[162:163], v[88:89], v[90:91]
	v_mul_f64 v[90:91], v[24:25], v[98:99]
	v_mul_f64 v[98:99], v[26:27], v[106:107]
	;; [unrolled: 1-line block ×4, first 2 shown]
	v_fma_f64 v[40:41], v[40:41], v[68:69], -v[214:215]
	v_fma_f64 v[68:69], v[164:165], v[68:69], v[70:71]
	v_mul_f64 v[70:71], v[28:29], v[114:115]
	v_mul_f64 v[106:107], v[30:31], v[126:127]
	;; [unrolled: 1-line block ×6, first 2 shown]
	v_add3_u32 v237, 0, v225, v221
	v_fma_f64 v[42:43], v[42:43], v[84:85], -v[177:178]
	v_fma_f64 v[84:85], v[166:167], v[84:85], v[86:87]
	v_mul_f64 v[86:87], v[36:37], v[122:123]
	v_mul_f64 v[122:123], v[56:57], v[134:135]
	v_fma_f64 v[130:131], v[24:25], v[96:97], -v[156:157]
	v_fma_f64 v[150:151], v[20:21], v[92:93], -v[206:207]
	;; [unrolled: 1-line block ×4, first 2 shown]
	v_lshlrev_b32_e32 v166, 3, v223
	v_add3_u32 v238, 0, v226, v222
	v_fma_f64 v[66:67], v[28:29], v[112:113], -v[66:67]
	v_fma_f64 v[162:163], v[32:33], v[108:109], -v[216:217]
	;; [unrolled: 1-line block ×4, first 2 shown]
	v_add3_u32 v239, 0, v147, v166
	v_fma_f64 v[145:146], v[36:37], v[120:121], -v[145:146]
	v_fma_f64 v[56:57], v[56:57], v[132:133], -v[210:211]
	;; [unrolled: 1-line block ×3, first 2 shown]
	ds_load_2addr_b64 v[20:23], v183 offset1:108
	ds_load_2addr_b64 v[24:27], v187 offset0:88 offset1:196
	ds_load_2addr_b64 v[28:31], v192 offset0:48 offset1:156
	ds_load_2addr_b64 v[32:35], v190 offset0:136 offset1:244
	ds_load_2addr_b64 v[36:39], v195 offset0:96 offset1:204
	v_fma_f64 v[58:59], v[58:59], v[148:149], -v[212:213]
	s_waitcnt lgkmcnt(0)
	v_fma_f64 v[90:91], v[137:138], v[96:97], v[90:91]
	s_barrier
	v_fma_f64 v[92:93], v[141:142], v[92:93], v[94:95]
	v_fma_f64 v[94:95], v[139:140], v[104:105], v[98:99]
	;; [unrolled: 1-line block ×3, first 2 shown]
	v_add_f64 v[100:101], v[54:55], v[50:51]
	v_fma_f64 v[70:71], v[168:169], v[112:113], v[70:71]
	v_fma_f64 v[98:99], v[170:171], v[124:125], v[106:107]
	;; [unrolled: 1-line block ×4, first 2 shown]
	v_add_f64 v[80:81], v[175:176], v[48:49]
	v_fma_f64 v[76:77], v[76:77], v[128:129], v[118:119]
	v_fma_f64 v[110:111], v[154:155], v[148:149], v[126:127]
	v_add_f64 v[106:107], v[44:45], v[40:41]
	v_add_f64 v[112:113], v[46:47], v[42:43]
	v_fma_f64 v[74:75], v[74:75], v[120:121], v[86:87]
	v_fma_f64 v[86:87], v[152:153], v[132:133], v[122:123]
	v_add_f64 v[102:103], v[82:83], v[60:61]
	v_add_f64 v[118:119], v[130:131], v[150:151]
	;; [unrolled: 1-line block ×7, first 2 shown]
	v_add_f64 v[128:129], v[82:83], -v[60:61]
	v_add_f64 v[82:83], v[20:21], v[82:83]
	v_add_f64 v[141:142], v[22:23], v[179:180]
	v_add_f64 v[124:125], v[66:67], v[162:163]
	v_add_f64 v[143:144], v[179:180], -v[64:65]
	v_add_f64 v[126:127], v[158:159], v[164:165]
	v_add_f64 v[132:133], v[2:3], v[54:55]
	v_add_f64 v[147:148], v[8:9], v[44:45]
	;; [unrolled: 4-line block ×3, first 2 shown]
	v_add_f64 v[139:140], v[160:161], v[58:59]
	v_add_f64 v[88:89], v[88:89], -v[84:85]
	v_add_f64 v[168:169], v[4:5], v[130:131]
	v_add_f64 v[177:178], v[6:7], v[134:135]
	;; [unrolled: 1-line block ×3, first 2 shown]
	v_add_f64 v[170:171], v[90:91], -v[92:93]
	v_add_f64 v[181:182], v[94:95], v[96:97]
	v_fma_f64 v[2:3], v[100:101], -0.5, v[2:3]
	v_add_f64 v[220:221], v[30:31], v[94:95]
	v_add_f64 v[94:95], v[94:95], -v[96:97]
	v_add_f64 v[210:211], v[70:71], v[78:79]
	v_add_f64 v[212:213], v[98:99], v[108:109]
	v_fma_f64 v[0:1], v[80:81], -0.5, v[0:1]
	v_add_f64 v[206:207], v[12:13], v[66:67]
	v_add_f64 v[218:219], v[76:77], v[110:111]
	v_fma_f64 v[8:9], v[106:107], -0.5, v[8:9]
	v_fma_f64 v[10:11], v[112:113], -0.5, v[10:11]
	v_add_f64 v[224:225], v[70:71], -v[78:79]
	v_add_f64 v[216:217], v[74:75], v[86:87]
	v_add_f64 v[72:73], v[24:25], v[72:73]
	v_fma_f64 v[4:5], v[118:119], -0.5, v[4:5]
	v_add_f64 v[175:176], v[175:176], -v[48:49]
	v_fma_f64 v[6:7], v[120:121], -0.5, v[6:7]
	v_add_f64 v[44:45], v[44:45], -v[40:41]
	v_fma_f64 v[20:21], v[102:103], -0.5, v[20:21]
	v_fma_f64 v[24:25], v[114:115], -0.5, v[24:25]
	v_add_f64 v[208:209], v[14:15], v[158:159]
	v_add_f64 v[226:227], v[34:35], v[98:99]
	v_add_f64 v[98:99], v[98:99], -v[108:109]
	v_fma_f64 v[12:13], v[124:125], -0.5, v[12:13]
	v_add_f64 v[54:55], v[54:55], -v[50:51]
	v_fma_f64 v[14:15], v[126:127], -0.5, v[14:15]
	;; [unrolled: 2-line block ×3, first 2 shown]
	v_fma_f64 v[26:27], v[116:117], -0.5, v[26:27]
	v_add_f64 v[214:215], v[16:17], v[145:146]
	v_add_f64 v[228:229], v[74:75], -v[86:87]
	v_fma_f64 v[16:17], v[137:138], -0.5, v[16:17]
	v_add_f64 v[222:223], v[18:19], v[160:161]
	v_add_f64 v[230:231], v[36:37], v[74:75]
	v_add_f64 v[74:75], v[76:77], -v[110:111]
	v_fma_f64 v[18:19], v[139:140], -0.5, v[18:19]
	v_add_f64 v[80:81], v[134:135], -v[156:157]
	v_add_f64 v[112:113], v[158:159], -v[164:165]
	;; [unrolled: 1-line block ×3, first 2 shown]
	v_add_f64 v[48:49], v[122:123], v[48:49]
	v_fma_f64 v[30:31], v[181:182], -0.5, v[30:31]
	v_add_f64 v[60:61], v[82:83], v[60:61]
	v_add_f64 v[90:91], v[28:29], v[90:91]
	v_fma_f64 v[34:35], v[212:213], -0.5, v[34:35]
	v_fma_f64 v[82:83], v[128:129], s[2:3], v[0:1]
	v_add_f64 v[70:71], v[32:33], v[70:71]
	v_add_f64 v[232:233], v[38:39], v[76:77]
	v_add_f64 v[76:77], v[130:131], -v[150:151]
	v_add_f64 v[66:67], v[66:67], -v[162:163]
	;; [unrolled: 1-line block ×3, first 2 shown]
	v_fma_f64 v[36:37], v[216:217], -0.5, v[36:37]
	v_fma_f64 v[28:29], v[179:180], -0.5, v[28:29]
	v_fma_f64 v[32:33], v[210:211], -0.5, v[32:33]
	v_fma_f64 v[38:39], v[218:219], -0.5, v[38:39]
	v_fma_f64 v[0:1], v[128:129], s[6:7], v[0:1]
	v_add_f64 v[50:51], v[132:133], v[50:51]
	v_fma_f64 v[114:115], v[143:144], s[2:3], v[2:3]
	v_fma_f64 v[2:3], v[143:144], s[6:7], v[2:3]
	v_add_f64 v[40:41], v[147:148], v[40:41]
	v_fma_f64 v[116:117], v[152:153], s[2:3], v[8:9]
	;; [unrolled: 3-line block ×8, first 2 shown]
	v_fma_f64 v[139:140], v[175:176], s[2:3], v[20:21]
	v_fma_f64 v[24:25], v[44:45], s[2:3], v[24:25]
	v_add_f64 v[64:65], v[141:142], v[64:65]
	v_fma_f64 v[14:15], v[98:99], s[6:7], v[14:15]
	v_add_f64 v[130:131], v[166:167], v[84:85]
	v_fma_f64 v[141:142], v[54:55], s[6:7], v[22:23]
	v_fma_f64 v[44:45], v[46:47], s[6:7], v[26:27]
	v_add_f64 v[56:57], v[214:215], v[56:57]
	v_fma_f64 v[98:99], v[228:229], s[2:3], v[16:17]
	v_fma_f64 v[54:55], v[54:55], s[2:3], v[22:23]
	;; [unrolled: 1-line block ×3, first 2 shown]
	v_add_f64 v[58:59], v[222:223], v[58:59]
	v_fma_f64 v[128:129], v[74:75], s[2:3], v[18:19]
	v_fma_f64 v[18:19], v[74:75], s[6:7], v[18:19]
	buffer_gl0_inv
	v_fma_f64 v[26:27], v[46:47], s[2:3], v[26:27]
	v_fma_f64 v[145:146], v[80:81], s[6:7], v[30:31]
	;; [unrolled: 1-line block ×3, first 2 shown]
	ds_store_2addr_b64 v234, v[48:49], v[82:83] offset1:3
	ds_store_b64 v234, v[0:1] offset:48
	ds_store_2addr_b64 v235, v[50:51], v[114:115] offset1:3
	ds_store_b64 v235, v[2:3] offset:48
	;; [unrolled: 2-line block ×10, first 2 shown]
	v_add_f64 v[40:41], v[226:227], v[108:109]
	v_fma_f64 v[42:43], v[112:113], s[6:7], v[34:35]
	v_fma_f64 v[50:51], v[118:119], s[6:7], v[36:37]
	;; [unrolled: 1-line block ×3, first 2 shown]
	v_add_f64 v[132:133], v[90:91], v[92:93]
	v_add_f64 v[78:79], v[70:71], v[78:79]
	v_fma_f64 v[46:47], v[76:77], s[6:7], v[28:29]
	v_fma_f64 v[147:148], v[66:67], s[6:7], v[32:33]
	v_fma_f64 v[34:35], v[112:113], s[2:3], v[34:35]
	v_add_f64 v[56:57], v[232:233], v[110:111]
	v_fma_f64 v[58:59], v[120:121], s[6:7], v[38:39]
	v_fma_f64 v[28:29], v[76:77], s[2:3], v[28:29]
	;; [unrolled: 1-line block ×3, first 2 shown]
	v_add_f64 v[48:49], v[230:231], v[86:87]
	v_fma_f64 v[38:39], v[120:121], s[2:3], v[38:39]
	v_add_f64 v[134:135], v[220:221], v[96:97]
	v_mul_lo_u16 v66, v136, 57
	s_waitcnt lgkmcnt(0)
	s_barrier
	buffer_gl0_inv
	ds_load_2addr_b64 v[4:7], v183 offset1:108
	ds_load_2addr_b64 v[0:3], v187 offset0:88 offset1:196
	ds_load_2addr_b64 v[92:95], v190 offset0:136 offset1:244
	;; [unrolled: 1-line block ×9, first 2 shown]
	v_lshrrev_b16 v206, 9, v66
	ds_load_2addr_b64 v[84:87], v192 offset0:48 offset1:156
	ds_load_2addr_b64 v[20:23], v184 offset0:56 offset1:164
	;; [unrolled: 1-line block ×5, first 2 shown]
	s_waitcnt lgkmcnt(0)
	s_barrier
	buffer_gl0_inv
	ds_store_2addr_b64 v234, v[60:61], v[137:138] offset1:3
	ds_store_b64 v234, v[139:140] offset:48
	ds_store_2addr_b64 v235, v[64:65], v[141:142] offset1:3
	ds_store_b64 v235, v[54:55] offset:48
	v_mul_lo_u16 v54, v205, 57
	ds_store_2addr_b64 v63, v[72:73], v[143:144] offset1:3
	ds_store_b64 v63, v[24:25] offset:48
	ds_store_2addr_b64 v62, v[130:131], v[44:45] offset1:3
	v_mul_lo_u16 v24, v206, 9
	ds_store_b64 v62, v[26:27] offset:48
	ds_store_2addr_b64 v53, v[132:133], v[46:47] offset1:3
	ds_store_b64 v53, v[28:29] offset:48
	ds_store_2addr_b64 v52, v[134:135], v[145:146] offset1:3
	v_lshrrev_b16 v207, 9, v54
	v_sub_nc_u16 v24, v174, v24
	ds_store_b64 v52, v[30:31] offset:48
	ds_store_2addr_b64 v236, v[78:79], v[147:148] offset1:3
	ds_store_b64 v236, v[32:33] offset:48
	ds_store_2addr_b64 v237, v[40:41], v[42:43] offset1:3
	;; [unrolled: 2-line block ×4, first 2 shown]
	ds_store_b64 v239, v[38:39] offset:48
	v_mul_lo_u16 v25, v207, 9
	v_and_b32_e32 v208, 0xff, v24
	s_waitcnt lgkmcnt(0)
	s_barrier
	buffer_gl0_inv
	v_sub_nc_u16 v24, v203, v25
	v_mul_u32_u24_e32 v25, 9, v208
	s_delay_alu instid0(VALU_DEP_2) | instskip(NEXT) | instid1(VALU_DEP_2)
	v_and_b32_e32 v209, 0xff, v24
	v_lshlrev_b32_e32 v60, 4, v25
	s_delay_alu instid0(VALU_DEP_2)
	v_mul_u32_u24_e32 v24, 9, v209
	global_load_b128 v[108:111], v60, s[4:5] offset:112
	v_lshlrev_b32_e32 v48, 4, v24
	s_clause 0x6
	global_load_b128 v[116:119], v48, s[4:5] offset:112
	global_load_b128 v[122:125], v60, s[4:5] offset:144
	;; [unrolled: 1-line block ×7, first 2 shown]
	v_mul_u32_u24_e32 v24, 0xe38f, v204
	s_delay_alu instid0(VALU_DEP_1) | instskip(NEXT) | instid1(VALU_DEP_1)
	v_lshrrev_b32_e32 v210, 19, v24
	v_mul_lo_u16 v24, v210, 9
	s_delay_alu instid0(VALU_DEP_1) | instskip(NEXT) | instid1(VALU_DEP_1)
	v_sub_nc_u16 v24, v202, v24
	v_and_b32_e32 v211, 0xffff, v24
	s_delay_alu instid0(VALU_DEP_1) | instskip(NEXT) | instid1(VALU_DEP_1)
	v_mul_u32_u24_e32 v24, 9, v211
	v_lshlrev_b32_e32 v61, 4, v24
	s_clause 0x12
	global_load_b128 v[150:153], v48, s[4:5] offset:96
	global_load_b128 v[156:159], v61, s[4:5] offset:96
	;; [unrolled: 1-line block ×19, first 2 shown]
	ds_load_2addr_b64 v[179:182], v190 offset0:136 offset1:244
	ds_load_2addr_b64 v[220:223], v188 offset0:16 offset1:124
	;; [unrolled: 1-line block ×4, first 2 shown]
	s_waitcnt vmcnt(26) lgkmcnt(3)
	v_mul_f64 v[72:73], v[179:180], v[110:111]
	v_mul_f64 v[78:79], v[92:93], v[110:111]
	s_waitcnt vmcnt(25)
	v_mul_f64 v[110:111], v[181:182], v[118:119]
	v_mul_f64 v[118:119], v[94:95], v[118:119]
	s_waitcnt vmcnt(24) lgkmcnt(2)
	v_mul_f64 v[134:135], v[220:221], v[124:125]
	v_mul_f64 v[124:125], v[88:89], v[124:125]
	s_waitcnt vmcnt(23)
	v_mul_f64 v[140:141], v[222:223], v[128:129]
	v_mul_f64 v[154:155], v[90:91], v[128:129]
	s_waitcnt vmcnt(22) lgkmcnt(1)
	v_mul_f64 v[232:233], v[224:225], v[132:133]
	v_mul_f64 v[234:235], v[74:75], v[132:133]
	v_fma_f64 v[112:113], v[92:93], v[108:109], -v[72:73]
	v_fma_f64 v[120:121], v[179:180], v[108:109], v[78:79]
	s_waitcnt vmcnt(20)
	v_mul_f64 v[78:79], v[226:227], v[138:139]
	v_mul_f64 v[108:109], v[76:77], v[138:139]
	v_fma_f64 v[114:115], v[94:95], v[116:117], -v[110:111]
	ds_load_2addr_b64 v[92:95], v192 offset0:48 offset1:156
	v_fma_f64 v[118:119], v[181:182], v[116:117], v[118:119]
	ds_load_2addr_b64 v[179:182], v195 offset0:96 offset1:204
	s_waitcnt lgkmcnt(2)
	v_mul_f64 v[110:111], v[228:229], v[144:145]
	v_mul_f64 v[116:117], v[80:81], v[144:145]
	v_fma_f64 v[132:133], v[88:89], v[122:123], -v[134:135]
	s_waitcnt vmcnt(19)
	v_mul_f64 v[88:89], v[82:83], v[148:149]
	v_mul_f64 v[144:145], v[230:231], v[148:149]
	v_fma_f64 v[128:129], v[220:221], v[122:123], v[124:125]
	v_fma_f64 v[134:135], v[90:91], v[126:127], -v[140:141]
	s_waitcnt vmcnt(18)
	v_mul_f64 v[148:149], v[84:85], v[152:153]
	v_fma_f64 v[126:127], v[222:223], v[126:127], v[154:155]
	ds_load_2addr_b64 v[220:223], v194 offset0:104 offset1:212
	v_fma_f64 v[138:139], v[74:75], v[130:131], -v[232:233]
	v_fma_f64 v[122:123], v[224:225], v[130:131], v[234:235]
	ds_load_2addr_b64 v[72:75], v185 offset0:112 offset1:220
	s_waitcnt lgkmcnt(3)
	v_mul_f64 v[90:91], v[92:93], v[152:153]
	s_waitcnt vmcnt(17)
	v_mul_f64 v[152:153], v[94:95], v[158:159]
	v_mul_f64 v[158:159], v[86:87], v[158:159]
	s_waitcnt vmcnt(16) lgkmcnt(2)
	v_mul_f64 v[224:225], v[181:182], v[162:163]
	v_mul_f64 v[162:163], v[70:71], v[162:163]
	v_fma_f64 v[140:141], v[76:77], v[136:137], -v[78:79]
	v_fma_f64 v[130:131], v[226:227], v[136:137], v[108:109]
	s_waitcnt vmcnt(15)
	v_mul_f64 v[136:137], v[179:180], v[166:167]
	ds_load_2addr_b64 v[76:79], v186 offset0:120 offset1:228
	v_mul_f64 v[166:167], v[68:69], v[166:167]
	s_waitcnt vmcnt(14) lgkmcnt(2)
	v_mul_f64 v[226:227], v[222:223], v[170:171]
	v_mul_f64 v[170:171], v[106:107], v[170:171]
	s_waitcnt vmcnt(11) lgkmcnt(1)
	v_mul_f64 v[232:233], v[72:73], v[26:27]
	v_fma_f64 v[124:125], v[80:81], v[142:143], -v[110:111]
	v_fma_f64 v[110:111], v[228:229], v[142:143], v[116:117]
	v_mul_f64 v[228:229], v[220:221], v[177:178]
	v_mul_f64 v[177:178], v[104:105], v[177:178]
	v_fma_f64 v[108:109], v[230:231], v[146:147], v[88:89]
	v_mul_f64 v[230:231], v[74:75], v[214:215]
	v_mul_f64 v[214:215], v[102:103], v[214:215]
	v_fma_f64 v[116:117], v[82:83], v[146:147], -v[144:145]
	ds_load_2addr_b64 v[80:83], v184 offset0:56 offset1:164
	v_fma_f64 v[144:145], v[92:93], v[150:151], v[148:149]
	s_waitcnt vmcnt(10) lgkmcnt(1)
	v_mul_f64 v[234:235], v[76:77], v[30:31]
	s_waitcnt vmcnt(9)
	v_mul_f64 v[236:237], v[78:79], v[218:219]
	v_mul_f64 v[218:219], v[98:99], v[218:219]
	v_fma_f64 v[154:155], v[84:85], v[150:151], -v[90:91]
	v_fma_f64 v[152:153], v[86:87], v[156:157], -v[152:153]
	v_fma_f64 v[150:151], v[94:95], v[156:157], v[158:159]
	ds_load_2addr_b64 v[88:91], v191 offset0:64 offset1:172
	ds_load_2addr_b64 v[84:87], v189 offset0:72 offset1:180
	v_fma_f64 v[146:147], v[70:71], v[160:161], -v[224:225]
	ds_load_2addr_b64 v[92:95], v197 offset0:80 offset1:188
	v_fma_f64 v[148:149], v[181:182], v[160:161], v[162:163]
	s_waitcnt vmcnt(7)
	v_mul_f64 v[160:161], v[22:23], v[42:43]
	v_mul_f64 v[181:182], v[96:97], v[30:31]
	s_waitcnt lgkmcnt(3)
	v_mul_f64 v[162:163], v[80:81], v[58:59]
	v_mul_f64 v[158:159], v[82:83], v[42:43]
	v_fma_f64 v[136:137], v[68:69], v[164:165], -v[136:137]
	ds_load_2addr_b64 v[68:71], v187 offset0:88 offset1:196
	v_fma_f64 v[142:143], v[179:180], v[164:165], v[166:167]
	v_mul_f64 v[164:165], v[20:21], v[58:59]
	v_fma_f64 v[156:157], v[106:107], v[168:169], -v[226:227]
	v_fma_f64 v[106:107], v[222:223], v[168:169], v[170:171]
	v_mul_f64 v[170:171], v[100:101], v[26:27]
	s_waitcnt vmcnt(4)
	v_mul_f64 v[179:180], v[12:13], v[46:47]
	v_add_f64 v[223:224], v[134:135], -v[114:115]
	s_waitcnt lgkmcnt(3)
	v_mul_f64 v[166:167], v[88:89], v[38:39]
	v_fma_f64 v[42:43], v[104:105], v[175:176], -v[228:229]
	v_mul_f64 v[104:105], v[16:17], v[38:39]
	v_fma_f64 v[58:59], v[220:221], v[175:176], v[177:178]
	s_waitcnt lgkmcnt(2)
	v_mul_f64 v[177:178], v[84:85], v[46:47]
	v_fma_f64 v[38:39], v[74:75], v[212:213], v[214:215]
	s_waitcnt vmcnt(3)
	v_mul_f64 v[74:75], v[86:87], v[54:55]
	v_mul_f64 v[54:55], v[14:15], v[54:55]
	v_fma_f64 v[46:47], v[100:101], v[24:25], -v[232:233]
	s_waitcnt vmcnt(2) lgkmcnt(1)
	v_mul_f64 v[100:101], v[92:93], v[50:51]
	v_mul_f64 v[50:51], v[8:9], v[50:51]
	;; [unrolled: 1-line block ×3, first 2 shown]
	v_fma_f64 v[30:31], v[96:97], v[28:29], -v[234:235]
	s_waitcnt vmcnt(1)
	v_mul_f64 v[96:97], v[94:95], v[66:67]
	v_mul_f64 v[66:67], v[10:11], v[66:67]
	v_fma_f64 v[26:27], v[78:79], v[216:217], v[218:219]
	s_waitcnt vmcnt(0) lgkmcnt(0)
	v_mul_f64 v[78:79], v[70:71], v[62:63]
	v_mul_f64 v[62:63], v[2:3], v[62:63]
	;; [unrolled: 1-line block ×3, first 2 shown]
	v_fma_f64 v[102:103], v[102:103], v[212:213], -v[230:231]
	v_fma_f64 v[34:35], v[98:99], v[216:217], -v[236:237]
	v_add_f64 v[225:226], v[140:141], -v[116:117]
	v_and_b32_e32 v98, 0xffff, v206
	v_and_b32_e32 v99, 0xffff, v207
	v_fma_f64 v[28:29], v[76:77], v[28:29], v[181:182]
	v_add_f64 v[76:77], v[120:121], v[110:111]
	v_fma_f64 v[20:21], v[20:21], v[56:57], -v[162:163]
	v_fma_f64 v[22:23], v[22:23], v[40:41], -v[158:159]
	v_fma_f64 v[40:41], v[82:83], v[40:41], v[160:161]
	v_add_f64 v[82:83], v[112:113], -v[132:133]
	v_add_f64 v[162:163], v[138:139], -v[124:125]
	v_add_f64 v[181:182], v[116:117], -v[140:141]
	v_fma_f64 v[56:57], v[80:81], v[56:57], v[164:165]
	v_add_f64 v[80:81], v[118:119], v[108:109]
	v_add_f64 v[164:165], v[106:107], -v[148:149]
	v_fma_f64 v[24:25], v[72:73], v[24:25], v[170:171]
	v_add_f64 v[170:171], v[114:115], -v[134:135]
	v_mul_u32_u24_e32 v98, 0x2d0, v98
	v_fma_f64 v[16:17], v[16:17], v[36:37], -v[166:167]
	v_mul_u32_u24_e32 v207, 0x2d0, v210
	v_fma_f64 v[36:37], v[88:89], v[36:37], v[104:105]
	v_add_f64 v[104:105], v[132:133], -v[112:113]
	v_fma_f64 v[12:13], v[12:13], v[44:45], -v[177:178]
	v_fma_f64 v[44:45], v[84:85], v[44:45], v[179:180]
	v_fma_f64 v[14:15], v[14:15], v[52:53], -v[74:75]
	v_fma_f64 v[52:53], v[86:87], v[52:53], v[54:55]
	v_add_f64 v[74:75], v[128:129], v[122:123]
	v_fma_f64 v[8:9], v[8:9], v[48:49], -v[100:101]
	v_fma_f64 v[48:49], v[92:93], v[48:49], v[50:51]
	v_fma_f64 v[18:19], v[18:19], v[32:33], -v[168:169]
	v_add_f64 v[168:169], v[6:7], v[114:115]
	v_fma_f64 v[10:11], v[10:11], v[64:65], -v[96:97]
	v_fma_f64 v[50:51], v[94:95], v[64:65], v[66:67]
	v_add_f64 v[64:65], v[134:135], v[140:141]
	v_fma_f64 v[2:3], v[2:3], v[60:61], -v[78:79]
	v_fma_f64 v[54:55], v[70:71], v[60:61], v[62:63]
	v_add_f64 v[60:61], v[132:133], v[138:139]
	v_add_f64 v[62:63], v[112:113], v[124:125]
	v_add_f64 v[66:67], v[114:115], v[116:117]
	v_fma_f64 v[32:33], v[90:91], v[32:33], v[175:176]
	v_add_f64 v[78:79], v[126:127], v[130:131]
	v_add_f64 v[94:95], v[4:5], v[112:113]
	;; [unrolled: 1-line block ×4, first 2 shown]
	v_add_f64 v[84:85], v[124:125], -v[138:139]
	v_add_f64 v[86:87], v[146:147], -v[156:157]
	;; [unrolled: 1-line block ×7, first 2 shown]
	v_add_f64 v[160:161], v[142:143], v[28:29]
	v_add_f64 v[166:167], v[38:39], -v[26:27]
	v_add_f64 v[158:159], v[58:59], v[24:25]
	v_mul_u32_u24_e32 v99, 0x2d0, v99
	v_lshlrev_b32_e32 v206, 3, v208
	v_add_f64 v[213:214], v[20:21], -v[16:17]
	v_add_f64 v[221:222], v[16:17], -v[20:21]
	;; [unrolled: 1-line block ×4, first 2 shown]
	v_lshlrev_b32_e32 v208, 3, v209
	v_lshlrev_b32_e32 v209, 3, v211
	v_add3_u32 v206, 0, v98, v206
	v_add_f64 v[175:176], v[0:1], v[136:137]
	v_add_f64 v[211:212], v[68:69], v[142:143]
	v_add_f64 v[215:216], v[8:9], -v[12:13]
	v_add_f64 v[219:220], v[48:49], -v[44:45]
	v_add_f64 v[227:228], v[12:13], -v[8:9]
	v_add_f64 v[231:232], v[44:45], -v[48:49]
	v_add3_u32 v99, 0, v99, v208
	v_add3_u32 v98, 0, v207, v209
	ds_load_2addr_b64 v[207:210], v183 offset1:108
	v_add_f64 v[233:234], v[10:11], -v[14:15]
	v_add_f64 v[235:236], v[46:47], -v[30:31]
	v_fma_f64 v[60:61], v[60:61], -0.5, v[4:5]
	v_fma_f64 v[4:5], v[62:63], -0.5, v[4:5]
	;; [unrolled: 1-line block ×4, first 2 shown]
	v_add_f64 v[64:65], v[136:137], -v[42:43]
	v_add_f64 v[66:67], v[30:31], -v[46:47]
	v_fma_f64 v[70:71], v[70:71], -0.5, v[0:1]
	v_fma_f64 v[0:1], v[72:73], -0.5, v[0:1]
	v_add_f64 v[72:73], v[22:23], -v[18:19]
	v_add_f64 v[82:83], v[82:83], v[84:85]
	v_add_f64 v[84:85], v[18:19], -v[22:23]
	v_add_f64 v[86:87], v[86:87], v[88:89]
	;; [unrolled: 2-line block ×4, first 2 shown]
	v_add_f64 v[162:163], v[52:53], -v[50:51]
	s_waitcnt lgkmcnt(0)
	v_add_f64 v[177:178], v[207:208], v[120:121]
	v_add_f64 v[179:180], v[209:210], v[118:119]
	v_fma_f64 v[74:75], v[74:75], -0.5, v[207:208]
	v_fma_f64 v[76:77], v[76:77], -0.5, v[207:208]
	;; [unrolled: 1-line block ×4, first 2 shown]
	v_add_f64 v[207:208], v[40:41], -v[32:33]
	v_add_f64 v[209:210], v[50:51], -v[52:53]
	v_fma_f64 v[158:159], v[158:159], -0.5, v[68:69]
	v_fma_f64 v[68:69], v[160:161], -0.5, v[68:69]
	v_add_f64 v[160:161], v[42:43], -v[136:137]
	v_add_f64 v[96:97], v[96:97], v[100:101]
	v_add_f64 v[100:101], v[120:121], -v[128:129]
	v_add_f64 v[164:165], v[164:165], v[166:167]
	;; [unrolled: 2-line block ×8, first 2 shown]
	v_add_f64 v[64:65], v[64:65], v[66:67]
	v_add_f64 v[66:67], v[2:3], v[146:147]
	v_add_f64 v[231:232], v[130:131], -v[108:109]
	v_add_f64 v[94:95], v[94:95], v[132:133]
	v_add_f64 v[72:73], v[72:73], v[233:234]
	v_add_f64 v[233:234], v[142:143], -v[58:59]
	;; [unrolled: 3-line block ×3, first 2 shown]
	v_add_f64 v[132:133], v[132:133], -v[138:139]
	v_add_f64 v[134:135], v[134:135], -v[140:141]
	v_add_f64 v[92:93], v[92:93], v[162:163]
	v_add_f64 v[162:163], v[24:25], -v[28:29]
	v_add_f64 v[175:176], v[175:176], v[42:43]
	v_add_f64 v[177:178], v[177:178], v[128:129]
	v_add_f64 v[128:129], v[128:129], -v[122:123]
	v_add_f64 v[179:180], v[179:180], v[126:127]
	v_add_f64 v[120:121], v[120:121], -v[110:111]
	v_add_f64 v[126:127], v[126:127], -v[130:131]
	v_add_f64 v[207:208], v[207:208], v[209:210]
	v_add_f64 v[209:210], v[154:155], v[20:21]
	;; [unrolled: 1-line block ×4, first 2 shown]
	v_add_f64 v[235:236], v[28:29], -v[24:25]
	v_add_f64 v[118:119], v[118:119], -v[108:109]
	;; [unrolled: 1-line block ×3, first 2 shown]
	v_add_f64 v[100:101], v[100:101], v[166:167]
	v_add_f64 v[166:167], v[156:157], v[102:103]
	v_add_f64 v[58:59], v[58:59], -v[24:25]
	v_add_f64 v[142:143], v[142:143], -v[28:29]
	v_add_f64 v[181:182], v[181:182], v[215:216]
	v_add_f64 v[215:216], v[146:147], v[34:35]
	v_add_f64 v[146:147], v[146:147], -v[34:35]
	v_add_f64 v[136:137], v[136:137], -v[30:31]
	;; [unrolled: 4-line block ×3, first 2 shown]
	v_add_f64 v[66:67], v[66:67], v[156:157]
	v_add_f64 v[227:228], v[227:228], v[231:232]
	;; [unrolled: 1-line block ×3, first 2 shown]
	v_add_f64 v[156:157], v[156:157], -v[102:103]
	v_add_f64 v[94:95], v[94:95], v[138:139]
	v_add_f64 v[138:139], v[36:37], v[44:45]
	;; [unrolled: 1-line block ×4, first 2 shown]
	v_add_f64 v[20:21], v[20:21], -v[8:9]
	s_barrier
	buffer_gl0_inv
	v_add_f64 v[88:89], v[88:89], v[162:163]
	v_add_f64 v[162:163], v[22:23], v[10:11]
	;; [unrolled: 1-line block ×3, first 2 shown]
	v_fma_f64 v[175:176], v[128:129], s[0:1], v[4:5]
	v_fma_f64 v[4:5], v[128:129], s[14:15], v[4:5]
	v_add_f64 v[122:123], v[177:178], v[122:123]
	v_add_f64 v[130:131], v[179:180], v[130:131]
	v_fma_f64 v[179:180], v[120:121], s[14:15], v[60:61]
	v_add_f64 v[209:210], v[209:210], v[16:17]
	v_add_f64 v[16:17], v[16:17], -v[12:13]
	v_fma_f64 v[60:61], v[120:121], s[0:1], v[60:61]
	v_add_f64 v[233:234], v[233:234], v[235:236]
	v_add_f64 v[235:236], v[18:19], v[14:15]
	;; [unrolled: 1-line block ×3, first 2 shown]
	v_fma_f64 v[211:212], v[118:119], s[14:15], v[62:63]
	v_fma_f64 v[166:167], v[166:167], -0.5, v[2:3]
	v_fma_f64 v[62:63], v[118:119], s[0:1], v[62:63]
	v_fma_f64 v[2:3], v[215:216], -0.5, v[2:3]
	v_add_f64 v[215:216], v[106:107], v[38:39]
	v_fma_f64 v[225:226], v[225:226], -0.5, v[154:155]
	v_add_f64 v[66:67], v[66:67], v[102:103]
	v_add_f64 v[102:103], v[56:57], v[48:49]
	v_fma_f64 v[154:155], v[231:232], -0.5, v[154:155]
	v_add_f64 v[231:232], v[148:149], v[26:27]
	;; [unrolled: 3-line block ×3, first 2 shown]
	v_fma_f64 v[168:169], v[168:169], -0.5, v[150:151]
	v_fma_f64 v[162:163], v[162:163], -0.5, v[152:153]
	v_add_f64 v[30:31], v[46:47], v[30:31]
	v_fma_f64 v[175:176], v[120:121], s[16:17], v[175:176]
	v_fma_f64 v[4:5], v[120:121], s[10:11], v[4:5]
	v_add_f64 v[108:109], v[130:131], v[108:109]
	v_fma_f64 v[179:180], v[128:129], s[16:17], v[179:180]
	v_add_f64 v[12:13], v[209:210], v[12:13]
	v_add_f64 v[209:210], v[40:41], v[50:51]
	v_fma_f64 v[60:61], v[128:129], s[10:11], v[60:61]
	v_fma_f64 v[235:236], v[235:236], -0.5, v[152:153]
	v_add_f64 v[152:153], v[152:153], v[22:23]
	v_add_f64 v[22:23], v[22:23], -v[10:11]
	v_fma_f64 v[211:212], v[126:127], s[16:17], v[211:212]
	v_fma_f64 v[62:63], v[126:127], s[10:11], v[62:63]
	v_add_f64 v[24:25], v[24:25], v[28:29]
	v_fma_f64 v[215:216], v[215:216], -0.5, v[54:55]
	v_add_f64 v[34:35], v[66:67], v[34:35]
	v_fma_f64 v[102:103], v[102:103], -0.5, v[144:145]
	;; [unrolled: 2-line block ×3, first 2 shown]
	v_add_f64 v[54:55], v[54:55], v[148:149]
	v_add_f64 v[148:149], v[148:149], -v[26:27]
	v_add_f64 v[56:57], v[56:57], -v[48:49]
	v_fma_f64 v[4:5], v[104:105], s[12:13], v[4:5]
	v_add_f64 v[8:9], v[12:13], v[8:9]
	v_fma_f64 v[209:210], v[209:210], -0.5, v[150:151]
	v_add_f64 v[150:151], v[150:151], v[40:41]
	v_add_f64 v[40:41], v[40:41], -v[50:51]
	v_fma_f64 v[12:13], v[142:143], s[14:15], v[70:71]
	v_add_f64 v[152:153], v[152:153], v[18:19]
	v_add_f64 v[18:19], v[18:19], -v[14:15]
	v_fma_f64 v[70:71], v[142:143], s[0:1], v[70:71]
	v_fma_f64 v[60:61], v[82:83], s[12:13], v[60:61]
	;; [unrolled: 1-line block ×4, first 2 shown]
	v_add_f64 v[144:145], v[144:145], v[36:37]
	v_add_f64 v[36:37], v[36:37], -v[44:45]
	v_add_f64 v[54:55], v[54:55], v[106:107]
	v_add_f64 v[106:107], v[106:107], -v[38:39]
	v_fma_f64 v[177:178], v[148:149], s[14:15], v[166:167]
	v_fma_f64 v[166:167], v[148:149], s[0:1], v[166:167]
	;; [unrolled: 1-line block ×5, first 2 shown]
	v_add_f64 v[150:151], v[150:151], v[32:33]
	v_add_f64 v[32:33], v[32:33], -v[52:53]
	v_fma_f64 v[140:141], v[40:41], s[0:1], v[235:236]
	v_add_f64 v[14:15], v[152:153], v[14:15]
	v_fma_f64 v[128:129], v[18:19], s[14:15], v[209:210]
	v_fma_f64 v[235:236], v[40:41], s[14:15], v[235:236]
	;; [unrolled: 1-line block ×6, first 2 shown]
	v_add_f64 v[44:45], v[144:145], v[44:45]
	v_fma_f64 v[144:145], v[146:147], s[0:1], v[215:216]
	v_fma_f64 v[215:216], v[146:147], s[14:15], v[215:216]
	;; [unrolled: 1-line block ×4, first 2 shown]
	v_add_f64 v[38:39], v[54:55], v[38:39]
	v_fma_f64 v[54:55], v[156:157], s[14:15], v[231:232]
	v_fma_f64 v[231:232], v[156:157], s[0:1], v[231:232]
	;; [unrolled: 1-line block ×10, first 2 shown]
	v_add_f64 v[52:53], v[150:151], v[52:53]
	v_fma_f64 v[150:151], v[126:127], s[0:1], v[6:7]
	v_fma_f64 v[6:7], v[126:127], s[14:15], v[6:7]
	;; [unrolled: 1-line block ×8, first 2 shown]
	v_add_f64 v[10:11], v[14:15], v[10:11]
	v_fma_f64 v[158:159], v[136:137], s[14:15], v[158:159]
	v_fma_f64 v[12:13], v[64:65], s[12:13], v[12:13]
	;; [unrolled: 1-line block ×4, first 2 shown]
	v_add_f64 v[44:45], v[44:45], v[48:49]
	v_fma_f64 v[144:145], v[156:157], s[10:11], v[144:145]
	v_fma_f64 v[156:157], v[156:157], s[16:17], v[215:216]
	;; [unrolled: 1-line block ×26, first 2 shown]
	v_add_f64 v[26:27], v[38:39], v[26:27]
	v_add_f64 v[38:39], v[122:123], v[110:111]
	v_fma_f64 v[80:81], v[114:115], s[16:17], v[80:81]
	v_fma_f64 v[106:107], v[86:87], s[12:13], v[106:107]
	v_fma_f64 v[36:37], v[213:214], s[12:13], v[36:37]
	v_fma_f64 v[128:129], v[92:93], s[12:13], v[128:129]
	v_add_f64 v[28:29], v[52:53], v[50:51]
	v_fma_f64 v[50:51], v[86:87], s[12:13], v[177:178]
	v_fma_f64 v[48:49], v[82:83], s[12:13], v[179:180]
	v_fma_f64 v[86:87], v[104:105], s[12:13], v[175:176]
	v_fma_f64 v[32:33], v[72:73], s[12:13], v[32:33]
	;; [unrolled: 5-line block ×3, first 2 shown]
	v_fma_f64 v[2:3], v[96:97], s[12:13], v[2:3]
	v_fma_f64 v[148:149], v[16:17], s[10:11], v[148:149]
	;; [unrolled: 1-line block ×26, first 2 shown]
	v_mul_f64 v[134:135], v[106:107], s[18:19]
	v_mul_f64 v[142:143], v[66:67], s[14:15]
	;; [unrolled: 1-line block ×4, first 2 shown]
	v_fma_f64 v[42:43], v[42:43], s[16:17], v[158:159]
	v_add_f64 v[34:35], v[94:95], -v[34:35]
	v_mul_f64 v[166:167], v[32:33], s[10:11]
	v_fma_f64 v[94:95], v[170:171], s[12:13], v[211:212]
	v_mul_f64 v[72:73], v[110:111], s[16:17]
	v_mul_f64 v[156:157], v[82:83], s[18:19]
	v_fma_f64 v[126:127], v[207:208], s[12:13], v[215:216]
	v_mul_f64 v[158:159], v[90:91], s[10:11]
	v_mul_f64 v[124:125], v[2:3], s[12:13]
	v_fma_f64 v[118:119], v[217:218], s[12:13], v[148:149]
	v_fma_f64 v[16:17], v[217:218], s[12:13], v[16:17]
	;; [unrolled: 1-line block ×4, first 2 shown]
	v_mul_f64 v[84:85], v[54:55], s[14:15]
	v_mul_f64 v[144:145], v[56:57], s[12:13]
	v_fma_f64 v[18:19], v[207:208], s[12:13], v[18:19]
	v_mul_f64 v[148:149], v[128:129], s[14:15]
	v_fma_f64 v[68:69], v[136:137], s[16:17], v[68:69]
	v_add_f64 v[136:137], v[116:117], v[8:9]
	v_add_f64 v[8:9], v[116:117], -v[8:9]
	v_add_f64 v[116:117], v[30:31], v[10:11]
	v_add_f64 v[10:11], v[30:31], -v[10:11]
	v_mul_f64 v[154:155], v[104:105], s[12:13]
	v_fma_f64 v[14:15], v[160:161], s[12:13], v[14:15]
	v_fma_f64 v[0:1], v[160:161], s[12:13], v[0:1]
	v_mul_f64 v[160:161], v[120:121], s[0:1]
	v_mul_f64 v[162:163], v[20:21], s[12:13]
	v_fma_f64 v[6:7], v[223:224], s[12:13], v[6:7]
	v_fma_f64 v[74:75], v[100:101], s[12:13], v[74:75]
	v_mul_f64 v[150:151], v[130:131], s[12:13]
	v_fma_f64 v[30:31], v[100:101], s[12:13], v[76:77]
	v_mul_f64 v[152:153], v[132:133], s[18:19]
	v_mul_f64 v[76:77], v[96:97], s[0:1]
	v_mul_f64 v[168:169], v[40:41], s[0:1]
	v_fma_f64 v[82:83], v[82:83], s[16:17], -v[134:135]
	v_fma_f64 v[100:101], v[120:121], s[12:13], v[142:143]
	v_fma_f64 v[58:59], v[181:182], s[12:13], v[58:59]
	;; [unrolled: 1-line block ×9, first 2 shown]
	v_mul_f64 v[92:93], v[126:127], s[16:17]
	v_mov_b32_e32 v176, 0
	v_mul_f64 v[140:141], v[118:119], s[16:17]
	v_mul_f64 v[164:165], v[16:17], s[18:19]
	v_fma_f64 v[16:17], v[16:17], s[16:17], -v[146:147]
	v_fma_f64 v[120:121], v[88:89], s[12:13], v[122:123]
	v_fma_f64 v[72:73], v[96:97], s[12:13], v[84:85]
	v_fma_f64 v[84:85], v[104:105], s[14:15], -v[124:125]
	v_fma_f64 v[20:21], v[20:21], s[14:15], -v[144:145]
	v_fma_f64 v[104:105], v[227:228], s[12:13], v[112:113]
	v_fma_f64 v[40:41], v[40:41], s[12:13], v[148:149]
	v_add_f64 v[96:97], v[38:39], v[26:27]
	v_fma_f64 v[68:69], v[88:89], s[12:13], v[68:69]
	v_add_f64 v[88:89], v[38:39], -v[26:27]
	v_fma_f64 v[26:27], v[110:111], s[18:19], v[64:65]
	v_fma_f64 v[2:3], v[2:3], s[0:1], -v[154:155]
	v_fma_f64 v[64:65], v[118:119], s[18:19], v[158:159]
	v_add_f64 v[122:123], v[108:109], v[44:45]
	v_fma_f64 v[66:67], v[66:67], s[12:13], v[160:161]
	v_fma_f64 v[56:57], v[56:57], s[0:1], -v[162:163]
	v_fma_f64 v[112:113], v[18:19], s[16:17], -v[152:153]
	v_mul_f64 v[18:19], v[18:19], s[18:19]
	v_fma_f64 v[38:39], v[54:55], s[12:13], v[76:77]
	v_fma_f64 v[54:55], v[106:107], s[10:11], -v[156:157]
	v_fma_f64 v[76:77], v[126:127], s[18:19], v[166:167]
	v_fma_f64 v[106:107], v[128:129], s[12:13], v[168:169]
	v_add_f64 v[126:127], v[60:61], v[82:83]
	v_add_f64 v[60:61], v[60:61], -v[82:83]
	v_add_f64 v[82:83], v[138:139], v[100:101]
	v_add_f64 v[110:111], v[48:49], v[50:51]
	v_add_f64 v[48:49], v[48:49], -v[50:51]
	v_fma_f64 v[32:33], v[32:33], s[18:19], v[92:93]
	v_fma_f64 v[92:93], v[22:23], s[14:15], -v[150:151]
	v_mul_f64 v[22:23], v[22:23], s[12:13]
	v_fma_f64 v[90:91], v[90:91], s[18:19], v[140:141]
	v_fma_f64 v[36:37], v[36:37], s[10:11], -v[164:165]
	v_add_f64 v[118:119], v[86:87], v[72:73]
	v_add_f64 v[124:125], v[4:5], v[84:85]
	v_add_f64 v[50:51], v[86:87], -v[72:73]
	v_add_f64 v[4:5], v[4:5], -v[84:85]
	v_add_f64 v[84:85], v[6:7], v[20:21]
	v_add_f64 v[6:7], v[6:7], -v[20:21]
	v_add_f64 v[86:87], v[62:63], v[16:17]
	;; [unrolled: 2-line block ×10, first 2 shown]
	v_add_f64 v[150:151], v[120:121], v[106:107]
	v_add_f64 v[20:21], v[12:13], v[32:33]
	v_add_f64 v[12:13], v[12:13], -v[32:33]
	v_fma_f64 v[22:23], v[130:131], s[0:1], -v[22:23]
	v_add_f64 v[72:73], v[94:95], v[90:91]
	v_add_f64 v[90:91], v[94:95], -v[90:91]
	v_add_f64 v[94:95], v[138:139], -v[100:101]
	v_add_f64 v[100:101], v[0:1], v[92:93]
	v_add_f64 v[0:1], v[0:1], -v[92:93]
	v_add_f64 v[32:33], v[46:47], -v[112:113]
	;; [unrolled: 1-line block ×3, first 2 shown]
	v_add_f64 v[108:109], v[24:25], v[28:29]
	v_add_f64 v[112:113], v[24:25], -v[28:29]
	v_fma_f64 v[24:25], v[132:133], s[10:11], -v[18:19]
	v_add_f64 v[130:131], v[30:31], v[26:27]
	v_add_f64 v[138:139], v[30:31], -v[26:27]
	v_add_f64 v[132:133], v[58:59], v[38:39]
	v_add_f64 v[146:147], v[78:79], v[36:37]
	v_add_f64 v[78:79], v[78:79], -v[36:37]
	ds_store_2addr_b64 v206, v[52:53], v[110:111] offset1:9
	ds_store_2addr_b64 v206, v[118:119], v[124:125] offset0:18 offset1:27
	ds_store_2addr_b64 v206, v[126:127], v[34:35] offset0:36 offset1:45
	ds_store_2addr_b64 v206, v[48:49], v[50:51] offset0:54 offset1:63
	ds_store_2addr_b64 v206, v[4:5], v[60:61] offset0:72 offset1:81
	ds_store_2addr_b64 v99, v[136:137], v[72:73] offset1:9
	ds_store_2addr_b64 v99, v[82:83], v[84:85] offset0:18 offset1:27
	ds_store_2addr_b64 v99, v[86:87], v[8:9] offset0:36 offset1:45
	ds_store_2addr_b64 v99, v[90:91], v[94:95] offset0:54 offset1:63
	ds_store_2addr_b64 v99, v[6:7], v[16:17] offset0:72 offset1:81
	;; [unrolled: 5-line block ×3, first 2 shown]
	v_add_f64 v[62:63], v[114:115], -v[76:77]
	v_add_f64 v[72:73], v[120:121], -v[106:107]
	v_mul_lo_u16 v84, 0xb7, v205
	v_add_f64 v[60:61], v[68:69], v[22:23]
	v_add_f64 v[68:69], v[68:69], -v[22:23]
	v_add_nc_u32_e32 v85, 0xffffffa6, v174
	v_cmp_gt_u32_e64 s0, 0x5a, v174
	v_lshrrev_b16 v178, 14, v84
	s_waitcnt lgkmcnt(0)
	s_barrier
	buffer_gl0_inv
	v_cndmask_b32_e64 v180, v85, v174, s0
	ds_load_2addr_b64 v[4:7], v183 offset1:108
	ds_load_2addr_b64 v[0:3], v192 offset0:48 offset1:156
	ds_load_2addr_b64 v[56:59], v184 offset0:56 offset1:164
	;; [unrolled: 1-line block ×5, first 2 shown]
	v_add_f64 v[76:77], v[42:43], v[24:25]
	v_add_f64 v[82:83], v[42:43], -v[24:25]
	ds_load_2addr_b64 v[48:51], v190 offset0:136 offset1:244
	ds_load_2addr_b64 v[44:47], v191 offset0:64 offset1:172
	;; [unrolled: 1-line block ×9, first 2 shown]
	s_waitcnt lgkmcnt(0)
	s_barrier
	buffer_gl0_inv
	ds_store_2addr_b64 v206, v[96:97], v[130:131] offset1:9
	ds_store_2addr_b64 v206, v[132:133], v[134:135] offset0:18 offset1:27
	ds_store_2addr_b64 v206, v[142:143], v[88:89] offset0:36 offset1:45
	ds_store_2addr_b64 v206, v[138:139], v[140:141] offset0:54 offset1:63
	ds_store_2addr_b64 v206, v[70:71], v[74:75] offset0:72 offset1:81
	ds_store_2addr_b64 v99, v[122:123], v[144:145] offset1:9
	v_mul_lo_u16 v70, 0x5a, v178
	v_mul_i32_i24_e32 v175, 5, v180
	ds_store_2addr_b64 v99, v[102:103], v[104:105] offset0:18 offset1:27
	ds_store_2addr_b64 v99, v[146:147], v[92:93] offset0:36 offset1:45
	;; [unrolled: 1-line block ×4, first 2 shown]
	ds_store_2addr_b64 v98, v[108:109], v[148:149] offset1:9
	ds_store_2addr_b64 v98, v[150:151], v[60:61] offset0:18 offset1:27
	v_sub_nc_u16 v64, v203, v70
	v_lshlrev_b64 v[60:61], 4, v[175:176]
	ds_store_2addr_b64 v98, v[76:77], v[112:113] offset0:36 offset1:45
	ds_store_2addr_b64 v98, v[62:63], v[72:73] offset0:54 offset1:63
	;; [unrolled: 1-line block ×3, first 2 shown]
	v_and_b32_e32 v177, 0xff, v64
	v_add_co_u32 v92, s0, s4, v60
	s_delay_alu instid0(VALU_DEP_1) | instskip(NEXT) | instid1(VALU_DEP_3)
	v_add_co_ci_u32_e64 v93, s0, s5, v61, s0
	v_mul_u32_u24_e32 v62, 5, v177
	s_waitcnt lgkmcnt(0)
	s_barrier
	v_mul_u32_u24_e32 v60, 0x2d83, v204
	buffer_gl0_inv
	v_lshlrev_b32_e32 v76, 4, v62
	s_clause 0x1
	global_load_b128 v[120:123], v[92:93], off offset:1408
	global_load_b128 v[72:75], v[92:93], off offset:1440
	v_lshrrev_b32_e32 v179, 20, v60
	v_mul_u32_u24_e32 v77, 0x2d83, v201
	s_clause 0x1
	global_load_b128 v[112:115], v76, s[4:5] offset:1408
	global_load_b128 v[64:67], v76, s[4:5] offset:1440
	v_mul_u32_u24_e32 v95, 0x2d83, v199
	v_mul_lo_u16 v60, 0x5a, v179
	v_lshrrev_b32_e32 v182, 20, v77
	v_cmp_lt_u32_e64 s0, 0x59, v174
	v_lshlrev_b32_e32 v177, 3, v177
	v_lshrrev_b32_e32 v199, 20, v95
	v_sub_nc_u16 v60, v202, v60
	v_mul_lo_u16 v77, 0x5a, v182
	v_cndmask_b32_e64 v225, 0, 0x10e0, s0
	v_mul_u32_u24_e32 v229, 0x10e0, v182
	v_mul_u32_u24_e32 v230, 0x10e0, v199
	v_and_b32_e32 v175, 0xffff, v60
	v_sub_nc_u16 v77, v200, v77
	s_delay_alu instid0(VALU_DEP_2) | instskip(NEXT) | instid1(VALU_DEP_2)
	v_mul_u32_u24_e32 v60, 5, v175
	v_and_b32_e32 v181, 0xffff, v77
	v_lshlrev_b32_e32 v175, 3, v175
	s_delay_alu instid0(VALU_DEP_3)
	v_lshlrev_b32_e32 v104, 4, v60
	s_clause 0x6
	global_load_b128 v[60:63], v76, s[4:5] offset:1392
	global_load_b128 v[68:71], v104, s[4:5] offset:1392
	;; [unrolled: 1-line block ×7, first 2 shown]
	v_mul_u32_u24_e32 v94, 5, v181
	s_clause 0x1
	global_load_b128 v[152:155], v[92:93], off offset:1424
	global_load_b128 v[156:159], v[92:93], off offset:1456
	v_lshlrev_b32_e32 v124, 4, v94
	v_mul_lo_u16 v94, 0x5a, v199
	global_load_b128 v[96:99], v124, s[4:5] offset:1408
	v_sub_nc_u16 v94, v198, v94
	s_delay_alu instid0(VALU_DEP_1) | instskip(SKIP_4) | instid1(VALU_DEP_1)
	v_and_b32_e32 v200, 0xffff, v94
	s_clause 0x1
	global_load_b128 v[92:95], v[92:93], off offset:1392
	global_load_b128 v[148:151], v124, s[4:5] offset:1424
	v_mul_u32_u24_e32 v105, 5, v200
	v_lshlrev_b32_e32 v125, 4, v105
	s_clause 0x8
	global_load_b128 v[104:107], v104, s[4:5] offset:1440
	global_load_b128 v[116:119], v125, s[4:5] offset:1424
	;; [unrolled: 1-line block ×9, first 2 shown]
	ds_load_2addr_b64 v[201:204], v184 offset0:56 offset1:164
	ds_load_2addr_b64 v[168:171], v185 offset0:112 offset1:220
	ds_load_2addr_b64 v[164:167], v190 offset0:136 offset1:244
	ds_load_2addr_b64 v[160:163], v191 offset0:64 offset1:172
	ds_load_2addr_b64 v[205:208], v186 offset0:120 offset1:228
	s_waitcnt vmcnt(24) lgkmcnt(4)
	v_mul_f64 v[209:210], v[201:202], v[122:123]
	v_mul_f64 v[122:123], v[56:57], v[122:123]
	s_waitcnt vmcnt(23)
	v_mul_f64 v[215:216], v[52:53], v[74:75]
	s_waitcnt lgkmcnt(3)
	v_mul_f64 v[213:214], v[168:169], v[74:75]
	s_waitcnt vmcnt(22)
	v_mul_f64 v[211:212], v[203:204], v[114:115]
	v_mul_f64 v[114:115], v[58:59], v[114:115]
	s_waitcnt vmcnt(21)
	v_mul_f64 v[74:75], v[170:171], v[66:67]
	v_mul_f64 v[66:67], v[54:55], v[66:67]
	s_waitcnt vmcnt(20) lgkmcnt(2)
	v_mul_f64 v[217:218], v[164:165], v[62:63]
	v_mul_f64 v[219:220], v[48:49], v[62:63]
	v_lshlrev_b32_e32 v62, 3, v180
	s_waitcnt vmcnt(19)
	v_mul_f64 v[221:222], v[166:167], v[70:71]
	v_mul_f64 v[223:224], v[50:51], v[70:71]
	v_mul_u32_u24_e32 v180, 0x10e0, v179
	v_add3_u32 v62, 0, v225, v62
	s_waitcnt vmcnt(18) lgkmcnt(1)
	v_mul_f64 v[225:226], v[160:161], v[90:91]
	v_fma_f64 v[209:210], v[56:57], v[120:121], -v[209:210]
	v_fma_f64 v[120:121], v[201:202], v[120:121], v[122:123]
	s_waitcnt vmcnt(16)
	v_mul_f64 v[122:123], v[162:163], v[86:87]
	v_fma_f64 v[201:202], v[58:59], v[112:113], -v[211:212]
	ds_load_2addr_b64 v[56:59], v188 offset0:16 offset1:124
	v_mul_f64 v[90:91], v[44:45], v[90:91]
	v_fma_f64 v[203:204], v[203:204], v[112:113], v[114:115]
	v_mul_f64 v[86:87], v[46:47], v[86:87]
	v_and_b32_e32 v112, 0xffff, v178
	s_waitcnt lgkmcnt(1)
	v_mul_f64 v[178:179], v[205:206], v[82:83]
	v_mul_f64 v[211:212], v[40:41], v[82:83]
	v_fma_f64 v[168:169], v[168:169], v[72:73], v[215:216]
	s_waitcnt vmcnt(14)
	v_mul_f64 v[215:216], v[207:208], v[78:79]
	v_fma_f64 v[213:214], v[52:53], v[72:73], -v[213:214]
	ds_load_2addr_b64 v[70:73], v194 offset0:104 offset1:212
	v_fma_f64 v[74:75], v[54:55], v[64:65], -v[74:75]
	ds_load_2addr_b64 v[52:55], v193 offset0:32 offset1:140
	v_mul_f64 v[78:79], v[42:43], v[78:79]
	v_mul_u32_u24_e32 v182, 0x10e0, v112
	v_add3_u32 v175, 0, v180, v175
	v_fma_f64 v[170:171], v[170:171], v[64:65], v[66:67]
	ds_load_2addr_b64 v[64:67], v192 offset0:48 offset1:156
	ds_load_2addr_b64 v[112:115], v189 offset0:72 offset1:180
	v_add_nc_u32_e32 v63, 0x400, v62
	s_waitcnt lgkmcnt(4)
	v_mul_f64 v[227:228], v[56:57], v[102:103]
	v_mul_f64 v[102:103], v[36:37], v[102:103]
	v_fma_f64 v[217:218], v[48:49], v[60:61], -v[217:218]
	v_fma_f64 v[60:61], v[164:165], v[60:61], v[219:220]
	s_waitcnt vmcnt(11)
	v_mul_f64 v[164:165], v[58:59], v[98:99]
	v_fma_f64 v[219:220], v[50:51], v[68:69], -v[221:222]
	ds_load_2addr_b64 v[48:51], v196 offset0:24 offset1:132
	v_fma_f64 v[68:69], v[166:167], v[68:69], v[223:224]
	s_waitcnt lgkmcnt(4)
	v_mul_f64 v[166:167], v[72:73], v[154:155]
	v_mul_f64 v[98:99], v[38:39], v[98:99]
	v_fma_f64 v[221:222], v[44:45], v[88:89], -v[225:226]
	v_lshlrev_b32_e32 v223, 3, v181
	v_lshlrev_b32_e32 v224, 3, v200
	v_fma_f64 v[122:123], v[46:47], v[84:85], -v[122:123]
	ds_load_2addr_b64 v[44:47], v197 offset0:80 offset1:188
	s_waitcnt vmcnt(4)
	v_mul_f64 v[199:200], v[34:35], v[146:147]
	v_fma_f64 v[88:89], v[160:161], v[88:89], v[90:91]
	v_mul_f64 v[90:91], v[18:19], v[154:155]
	s_waitcnt lgkmcnt(4)
	v_mul_f64 v[154:155], v[54:55], v[158:159]
	v_mul_f64 v[158:159], v[14:15], v[158:159]
	v_fma_f64 v[86:87], v[162:163], v[84:85], v[86:87]
	v_fma_f64 v[162:163], v[40:41], v[80:81], -v[178:179]
	v_fma_f64 v[80:81], v[205:206], v[80:81], v[211:212]
	v_add3_u32 v211, 0, v182, v177
	v_fma_f64 v[179:180], v[42:43], v[76:77], -v[215:216]
	v_mul_f64 v[42:43], v[30:31], v[118:119]
	s_waitcnt lgkmcnt(1)
	v_mul_f64 v[40:41], v[48:49], v[150:151]
	v_mul_f64 v[150:151], v[28:29], v[150:151]
	ds_load_2addr_b64 v[82:85], v195 offset0:96 offset1:204
	v_mul_f64 v[160:161], v[66:67], v[94:95]
	v_fma_f64 v[76:77], v[207:208], v[76:77], v[78:79]
	v_mul_f64 v[78:79], v[114:115], v[110:111]
	v_mul_f64 v[94:95], v[2:3], v[94:95]
	;; [unrolled: 1-line block ×3, first 2 shown]
	s_waitcnt lgkmcnt(1)
	v_mul_f64 v[181:182], v[44:45], v[142:143]
	v_mul_f64 v[142:143], v[32:33], v[142:143]
	v_fma_f64 v[56:57], v[56:57], v[100:101], v[102:103]
	v_mul_f64 v[102:103], v[50:51], v[118:119]
	v_mul_f64 v[118:119], v[46:47], v[146:147]
	v_fma_f64 v[205:206], v[36:37], v[100:101], -v[227:228]
	v_mul_f64 v[100:101], v[26:27], v[110:111]
	v_mul_f64 v[106:107], v[24:25], v[106:107]
	v_fma_f64 v[110:111], v[38:39], v[96:97], -v[164:165]
	ds_load_2addr_b64 v[36:39], v183 offset1:108
	v_add3_u32 v207, 0, v229, v223
	v_add3_u32 v212, 0, v230, v224
	v_fma_f64 v[18:19], v[18:19], v[152:153], -v[166:167]
	v_fma_f64 v[58:59], v[58:59], v[96:97], v[98:99]
	s_waitcnt vmcnt(3)
	v_mul_f64 v[96:97], v[20:21], v[138:139]
	s_waitcnt lgkmcnt(1)
	v_mul_f64 v[146:147], v[82:83], v[138:139]
	s_waitcnt vmcnt(2)
	v_mul_f64 v[98:99], v[84:85], v[134:135]
	v_mul_f64 v[134:135], v[22:23], v[134:135]
	s_waitcnt vmcnt(1)
	v_mul_f64 v[138:139], v[70:71], v[130:131]
	v_fma_f64 v[46:47], v[46:47], v[144:145], v[199:200]
	v_mul_f64 v[130:131], v[16:17], v[130:131]
	v_fma_f64 v[72:73], v[72:73], v[152:153], v[90:91]
	v_fma_f64 v[14:15], v[14:15], v[156:157], -v[154:155]
	v_fma_f64 v[54:55], v[54:55], v[156:157], v[158:159]
	s_waitcnt vmcnt(0)
	v_mul_f64 v[90:91], v[52:53], v[126:127]
	v_mul_f64 v[126:127], v[12:13], v[126:127]
	v_add_f64 v[154:155], v[209:210], -v[213:214]
	v_add_nc_u32_e32 v208, 0x800, v62
	v_add_nc_u32_e32 v215, 0x400, v211
	v_fma_f64 v[50:51], v[50:51], v[116:117], v[42:43]
	v_fma_f64 v[28:29], v[28:29], v[148:149], -v[40:41]
	v_fma_f64 v[48:49], v[48:49], v[148:149], v[150:151]
	ds_load_2addr_b64 v[40:43], v187 offset0:88 offset1:196
	v_fma_f64 v[2:3], v[2:3], v[92:93], -v[160:161]
	v_add_nc_u32_e32 v216, 0x800, v211
	v_fma_f64 v[26:27], v[26:27], v[108:109], -v[78:79]
	v_fma_f64 v[66:67], v[66:67], v[92:93], v[94:95]
	v_fma_f64 v[24:25], v[24:25], v[104:105], -v[177:178]
	v_fma_f64 v[32:33], v[32:33], v[140:141], -v[181:182]
	v_fma_f64 v[44:45], v[44:45], v[140:141], v[142:143]
	v_add_f64 v[92:93], v[201:202], v[74:75]
	v_fma_f64 v[30:31], v[30:31], v[116:117], -v[102:103]
	v_fma_f64 v[34:35], v[34:35], v[144:145], -v[118:119]
	v_add_f64 v[116:117], v[86:87], v[76:77]
	v_fma_f64 v[78:79], v[114:115], v[108:109], v[100:101]
	v_fma_f64 v[102:103], v[112:113], v[104:105], v[106:107]
	v_add_f64 v[106:107], v[88:89], v[80:81]
	v_add_f64 v[104:105], v[221:222], v[162:163]
	v_add_f64 v[108:109], v[122:123], v[179:180]
	v_add_f64 v[118:119], v[6:7], v[201:202]
	v_add_f64 v[114:115], v[120:121], -v[168:169]
	s_waitcnt lgkmcnt(1)
	v_add_f64 v[177:178], v[36:37], v[120:121]
	v_fma_f64 v[82:83], v[82:83], v[136:137], v[96:97]
	v_fma_f64 v[20:21], v[20:21], v[136:137], -v[146:147]
	v_fma_f64 v[22:23], v[22:23], v[132:133], -v[98:99]
	v_fma_f64 v[84:85], v[84:85], v[132:133], v[134:135]
	v_fma_f64 v[16:17], v[16:17], v[128:129], -v[138:139]
	v_add_f64 v[98:99], v[4:5], v[209:210]
	v_fma_f64 v[70:71], v[70:71], v[128:129], v[130:131]
	v_add_f64 v[128:129], v[221:222], -v[162:163]
	v_add_f64 v[96:97], v[18:19], v[14:15]
	v_add_f64 v[100:101], v[72:73], v[54:55]
	v_fma_f64 v[12:13], v[12:13], v[124:125], -v[90:91]
	v_fma_f64 v[52:53], v[52:53], v[124:125], v[126:127]
	v_add_f64 v[90:91], v[209:210], v[213:214]
	v_add_f64 v[112:113], v[72:73], -v[54:55]
	v_add_f64 v[124:125], v[217:218], v[221:222]
	v_add_f64 v[138:139], v[50:51], v[46:47]
	v_add_f64 v[130:131], v[88:89], -v[80:81]
	v_add_f64 v[88:89], v[60:61], v[88:89]
	v_add_f64 v[136:137], v[219:220], v[122:123]
	;; [unrolled: 1-line block ×3, first 2 shown]
	v_add_f64 v[18:19], v[18:19], -v[14:15]
	v_add_f64 v[122:123], v[122:123], -v[179:180]
	v_add_f64 v[72:73], v[66:67], v[72:73]
	v_add_f64 v[146:147], v[86:87], -v[76:77]
	v_add_f64 v[126:127], v[28:29], v[32:33]
	v_add_f64 v[132:133], v[48:49], v[44:45]
	;; [unrolled: 1-line block ×5, first 2 shown]
	v_fma_f64 v[68:69], v[116:117], -0.5, v[68:69]
	v_add_f64 v[156:157], v[48:49], -v[44:45]
	v_add_f64 v[120:121], v[120:121], v[168:169]
	v_fma_f64 v[60:61], v[106:107], -0.5, v[60:61]
	v_add_f64 v[148:149], v[110:111], v[26:27]
	v_fma_f64 v[108:109], v[108:109], -0.5, v[219:220]
	v_add_f64 v[166:167], v[50:51], -v[46:47]
	v_add_f64 v[150:151], v[10:11], v[110:111]
	v_add_f64 v[140:141], v[8:9], v[205:206]
	;; [unrolled: 1-line block ×4, first 2 shown]
	v_add_f64 v[28:29], v[28:29], -v[32:33]
	v_add_f64 v[164:165], v[22:23], v[30:31]
	v_add_f64 v[30:31], v[30:31], -v[34:35]
	v_add_f64 v[50:51], v[84:85], v[50:51]
	v_fma_f64 v[6:7], v[92:93], -0.5, v[6:7]
	v_add_f64 v[199:200], v[56:57], -v[102:103]
	v_fma_f64 v[2:3], v[96:97], -0.5, v[2:3]
	v_fma_f64 v[66:67], v[100:101], -0.5, v[66:67]
	;; [unrolled: 1-line block ×3, first 2 shown]
	v_add_f64 v[96:97], v[56:57], v[102:103]
	v_add_f64 v[104:105], v[58:59], v[78:79]
	;; [unrolled: 1-line block ×4, first 2 shown]
	v_fma_f64 v[84:85], v[138:139], -0.5, v[84:85]
	v_add_f64 v[138:139], v[70:71], -v[52:53]
	v_add_f64 v[70:71], v[64:65], v[70:71]
	v_fma_f64 v[4:5], v[90:91], -0.5, v[4:5]
	v_add_f64 v[90:91], v[98:99], v[213:214]
	v_add_f64 v[92:93], v[124:125], v[162:163]
	;; [unrolled: 1-line block ×5, first 2 shown]
	v_fma_f64 v[20:21], v[126:127], -0.5, v[20:21]
	v_fma_f64 v[82:83], v[132:133], -0.5, v[82:83]
	v_add_f64 v[126:127], v[201:202], -v[74:75]
	v_add_f64 v[132:133], v[58:59], -v[78:79]
	v_fma_f64 v[22:23], v[142:143], -0.5, v[22:23]
	s_waitcnt lgkmcnt(0)
	v_add_f64 v[58:59], v[42:43], v[58:59]
	v_add_f64 v[74:75], v[118:119], v[74:75]
	v_fma_f64 v[72:73], v[122:123], s[6:7], v[68:69]
	v_fma_f64 v[124:125], v[128:129], s[6:7], v[60:61]
	v_fma_f64 v[8:9], v[144:145], -0.5, v[8:9]
	v_fma_f64 v[144:145], v[146:147], s[6:7], v[108:109]
	v_fma_f64 v[36:37], v[120:121], -0.5, v[36:37]
	v_fma_f64 v[10:11], v[148:149], -0.5, v[10:11]
	v_add_f64 v[56:57], v[40:41], v[56:57]
	v_add_f64 v[160:161], v[0:1], v[16:17]
	v_add_f64 v[134:135], v[203:204], -v[170:171]
	v_add_f64 v[181:182], v[203:204], v[170:171]
	v_add_f64 v[110:111], v[110:111], -v[26:27]
	v_add_f64 v[32:33], v[152:153], v[32:33]
	v_add_f64 v[26:27], v[150:151], v[26:27]
	;; [unrolled: 1-line block ×3, first 2 shown]
	v_fma_f64 v[60:61], v[128:129], s[2:3], v[60:61]
	v_fma_f64 v[118:119], v[112:113], s[6:7], v[2:3]
	;; [unrolled: 1-line block ×4, first 2 shown]
	v_fma_f64 v[40:41], v[96:97], -0.5, v[40:41]
	v_fma_f64 v[42:43], v[104:105], -0.5, v[42:43]
	v_fma_f64 v[2:3], v[112:113], s[2:3], v[2:3]
	v_fma_f64 v[18:19], v[18:19], s[2:3], v[66:67]
	;; [unrolled: 1-line block ×4, first 2 shown]
	v_add_f64 v[106:107], v[38:39], v[203:204]
	v_add_f64 v[142:143], v[205:206], -v[24:25]
	v_add_f64 v[24:25], v[140:141], v[24:25]
	v_fma_f64 v[0:1], v[158:159], -0.5, v[0:1]
	v_add_f64 v[52:53], v[70:71], v[52:53]
	v_add_f64 v[46:47], v[50:51], v[46:47]
	v_fma_f64 v[50:51], v[146:147], s[2:3], v[108:109]
	v_fma_f64 v[148:149], v[156:157], s[6:7], v[20:21]
	;; [unrolled: 1-line block ×9, first 2 shown]
	v_add_f64 v[58:59], v[58:59], v[78:79]
	v_mul_f64 v[84:85], v[124:125], s[2:3]
	v_add_f64 v[76:77], v[86:87], v[76:77]
	v_add_f64 v[82:83], v[90:91], v[14:15]
	v_add_f64 v[14:15], v[90:91], -v[14:15]
	v_mul_f64 v[90:91], v[72:73], s[2:3]
	v_mul_f64 v[100:101], v[144:145], -0.5
	v_fma_f64 v[66:67], v[114:115], s[2:3], v[4:5]
	v_fma_f64 v[4:5], v[114:115], s[6:7], v[4:5]
	v_fma_f64 v[64:65], v[116:117], -0.5, v[64:65]
	v_add_f64 v[16:17], v[16:17], -v[12:13]
	v_add_f64 v[34:35], v[164:165], v[34:35]
	v_add_f64 v[12:13], v[160:161], v[12:13]
	;; [unrolled: 1-line block ×3, first 2 shown]
	v_mul_f64 v[78:79], v[118:119], -0.5
	v_mul_f64 v[70:71], v[98:99], s[2:3]
	v_mul_f64 v[86:87], v[136:137], -0.5
	v_fma_f64 v[88:89], v[134:135], s[2:3], v[6:7]
	v_fma_f64 v[6:7], v[134:135], s[6:7], v[6:7]
	v_mul_f64 v[130:131], v[2:3], s[6:7]
	v_mul_f64 v[134:135], v[18:19], -0.5
	v_mul_f64 v[114:115], v[96:97], s[2:3]
	v_add_f64 v[140:141], v[177:178], v[168:169]
	v_fma_f64 v[38:39], v[181:182], -0.5, v[38:39]
	v_add_f64 v[128:129], v[26:27], v[32:33]
	v_add_f64 v[26:27], v[26:27], -v[32:33]
	v_mul_f64 v[32:33], v[48:49], s[6:7]
	v_mul_f64 v[146:147], v[60:61], -0.5
	v_add_f64 v[106:107], v[106:107], v[170:171]
	v_add_f64 v[56:57], v[56:57], v[102:103]
	v_mul_f64 v[112:113], v[148:149], -0.5
	v_mul_f64 v[108:109], v[120:121], s[2:3]
	v_add_f64 v[122:123], v[24:25], v[94:95]
	v_add_f64 v[24:25], v[24:25], -v[94:95]
	v_mul_f64 v[116:117], v[104:105], -0.5
	v_fma_f64 v[94:95], v[132:133], s[2:3], v[10:11]
	v_fma_f64 v[10:11], v[132:133], s[6:7], v[10:11]
	;; [unrolled: 1-line block ×3, first 2 shown]
	v_mul_f64 v[152:153], v[50:51], s[6:7]
	v_fma_f64 v[0:1], v[138:139], s[6:7], v[0:1]
	v_mul_f64 v[138:139], v[68:69], -0.5
	v_mul_f64 v[156:157], v[20:21], s[6:7]
	v_mul_f64 v[158:159], v[28:29], -0.5
	v_mul_f64 v[160:161], v[22:23], s[6:7]
	v_mul_f64 v[162:163], v[30:31], -0.5
	v_fma_f64 v[48:49], v[48:49], 0.5, v[84:85]
	v_add_f64 v[102:103], v[74:75], v[92:93]
	v_add_f64 v[74:75], v[74:75], -v[92:93]
	v_fma_f64 v[92:93], v[199:200], s[2:3], v[8:9]
	v_fma_f64 v[50:51], v[50:51], 0.5, v[90:91]
	v_fma_f64 v[8:9], v[199:200], s[6:7], v[8:9]
	v_fma_f64 v[68:69], v[68:69], s[2:3], v[100:101]
	;; [unrolled: 1-line block ×3, first 2 shown]
	v_fma_f64 v[2:3], v[2:3], 0.5, v[70:71]
	v_fma_f64 v[60:61], v[60:61], s[2:3], v[86:87]
	v_add_f64 v[150:151], v[12:13], v[34:35]
	v_add_f64 v[12:13], v[12:13], -v[34:35]
	v_fma_f64 v[34:35], v[154:155], s[6:7], v[36:37]
	v_fma_f64 v[90:91], v[16:17], s[6:7], v[64:65]
	v_fma_f64 v[22:23], v[22:23], 0.5, v[114:115]
	v_fma_f64 v[16:17], v[16:17], s[2:3], v[64:65]
	v_fma_f64 v[64:65], v[98:99], 0.5, v[130:131]
	v_fma_f64 v[36:37], v[154:155], s[2:3], v[36:37]
	v_fma_f64 v[98:99], v[118:119], s[6:7], v[134:135]
	v_add_f64 v[70:71], v[140:141], v[54:55]
	v_add_f64 v[78:79], v[140:141], -v[54:55]
	v_fma_f64 v[54:55], v[126:127], s[6:7], v[38:39]
	v_fma_f64 v[32:33], v[124:125], 0.5, v[32:33]
	v_fma_f64 v[28:29], v[28:29], s[2:3], v[112:113]
	v_fma_f64 v[20:21], v[20:21], 0.5, v[108:109]
	v_fma_f64 v[38:39], v[126:127], s[2:3], v[38:39]
	v_fma_f64 v[108:109], v[136:137], s[6:7], v[146:147]
	;; [unrolled: 1-line block ×7, first 2 shown]
	v_add_f64 v[100:101], v[106:107], v[80:81]
	v_add_f64 v[80:81], v[106:107], -v[80:81]
	v_add_f64 v[106:107], v[56:57], v[76:77]
	v_add_f64 v[76:77], v[56:57], -v[76:77]
	v_fma_f64 v[56:57], v[72:73], 0.5, v[152:153]
	v_fma_f64 v[110:111], v[144:145], s[6:7], v[138:139]
	v_fma_f64 v[112:113], v[120:121], 0.5, v[156:157]
	v_fma_f64 v[114:115], v[148:149], s[6:7], v[158:159]
	;; [unrolled: 2-line block ×3, first 2 shown]
	v_add_nc_u32_e32 v223, 0x400, v175
	v_add_nc_u32_e32 v224, 0x800, v175
	;; [unrolled: 1-line block ×3, first 2 shown]
	v_add_f64 v[118:119], v[4:5], v[18:19]
	v_add_f64 v[116:117], v[66:67], v[2:3]
	v_add_f64 v[2:3], v[66:67], -v[2:3]
	v_add_f64 v[4:5], v[4:5], -v[18:19]
	v_add_f64 v[18:19], v[88:89], v[48:49]
	v_add_f64 v[66:67], v[6:7], v[60:61]
	v_add_f64 v[48:49], v[88:89], -v[48:49]
	v_add_f64 v[6:7], v[6:7], -v[60:61]
	;; [unrolled: 4-line block ×3, first 2 shown]
	v_add_f64 v[130:131], v[34:35], v[64:65]
	v_add_f64 v[64:65], v[34:35], -v[64:65]
	v_add_nc_u32_e32 v226, 0x800, v207
	v_add_f64 v[134:135], v[54:55], v[32:33]
	v_add_f64 v[92:93], v[10:11], v[28:29]
	;; [unrolled: 1-line block ×3, first 2 shown]
	v_add_f64 v[20:21], v[94:95], -v[20:21]
	v_add_f64 v[10:11], v[10:11], -v[28:29]
	v_add_f64 v[28:29], v[132:133], v[22:23]
	v_add_f64 v[94:95], v[0:1], v[30:31]
	v_add_f64 v[22:23], v[132:133], -v[22:23]
	v_add_f64 v[0:1], v[0:1], -v[30:31]
	v_add_f64 v[132:133], v[36:37], v[98:99]
	v_add_f64 v[98:99], v[36:37], -v[98:99]
	v_add_f64 v[138:139], v[38:39], v[108:109]
	v_add_nc_u32_e32 v227, 0x400, v212
	v_add_nc_u32_e32 v228, 0x800, v212
	s_barrier
	buffer_gl0_inv
	v_add_f64 v[72:73], v[58:59], v[44:45]
	v_add_f64 v[120:121], v[58:59], -v[44:45]
	v_add_f64 v[124:125], v[52:53], v[46:47]
	v_add_f64 v[126:127], v[52:53], -v[46:47]
	v_add_f64 v[136:137], v[54:55], -v[32:33]
	;; [unrolled: 1-line block ×3, first 2 shown]
	v_add_f64 v[140:141], v[84:85], v[56:57]
	v_add_f64 v[84:85], v[84:85], -v[56:57]
	v_add_f64 v[142:143], v[40:41], v[110:111]
	v_add_f64 v[110:111], v[40:41], -v[110:111]
	;; [unrolled: 2-line block ×6, first 2 shown]
	ds_store_2addr_b64 v62, v[82:83], v[116:117] offset1:90
	ds_store_2addr_b64 v63, v[118:119], v[14:15] offset0:52 offset1:142
	ds_store_2addr_b64 v208, v[2:3], v[4:5] offset0:104 offset1:194
	ds_store_2addr_b64 v211, v[102:103], v[18:19] offset1:90
	ds_store_2addr_b64 v215, v[66:67], v[74:75] offset0:52 offset1:142
	ds_store_2addr_b64 v216, v[48:49], v[6:7] offset0:104 offset1:194
	;; [unrolled: 3-line block ×5, first 2 shown]
	s_waitcnt lgkmcnt(0)
	s_barrier
	buffer_gl0_inv
	ds_load_2addr_b64 v[0:3], v183 offset1:108
	ds_load_2addr_b64 v[8:11], v192 offset0:48 offset1:156
	ds_load_2addr_b64 v[16:19], v184 offset0:56 offset1:164
	;; [unrolled: 1-line block ×14, first 2 shown]
	s_waitcnt lgkmcnt(0)
	s_barrier
	buffer_gl0_inv
	ds_store_2addr_b64 v62, v[70:71], v[130:131] offset1:90
	ds_store_2addr_b64 v63, v[132:133], v[78:79] offset0:52 offset1:142
	ds_store_2addr_b64 v208, v[64:65], v[98:99] offset0:104 offset1:194
	ds_store_2addr_b64 v211, v[100:101], v[134:135] offset1:90
	ds_store_2addr_b64 v215, v[138:139], v[80:81] offset0:52 offset1:142
	ds_store_2addr_b64 v216, v[136:137], v[108:109] offset0:104 offset1:194
	;; [unrolled: 3-line block ×5, first 2 shown]
	s_waitcnt lgkmcnt(0)
	s_barrier
	buffer_gl0_inv
	s_and_saveexec_b32 s0, vcc_lo
	s_cbranch_execz .LBB0_13
; %bb.12:
	v_mad_u32_u24 v175, v198, 5, 0xfffffde4
	v_mul_u32_u24_e32 v60, 5, v198
	v_mul_u32_u24_e32 v61, 5, v174
	s_delay_alu instid0(VALU_DEP_3) | instskip(SKIP_1) | instid1(VALU_DEP_4)
	v_lshlrev_b64 v[72:73], 4, v[175:176]
	v_mad_u32_u24 v175, v198, 5, 0xfffffbc8
	v_lshlrev_b32_e32 v60, 4, v60
	s_delay_alu instid0(VALU_DEP_2) | instskip(SKIP_1) | instid1(VALU_DEP_1)
	v_lshlrev_b64 v[108:109], 4, v[175:176]
	v_mad_u32_u24 v175, v198, 5, 0xfffff9ac
	v_lshlrev_b64 v[134:135], 4, v[175:176]
	v_mov_b32_e32 v175, v176
	v_add_co_u32 v84, s0, s4, v60
	s_delay_alu instid0(VALU_DEP_1) | instskip(SKIP_1) | instid1(VALU_DEP_3)
	v_add_co_ci_u32_e64 v85, null, s5, 0, s0
	v_lshlrev_b32_e32 v60, 4, v61
	v_add_co_u32 v76, vcc_lo, 0x2190, v84
	s_delay_alu instid0(VALU_DEP_3) | instskip(NEXT) | instid1(VALU_DEP_3)
	v_add_co_ci_u32_e32 v77, vcc_lo, 0, v85, vcc_lo
	v_add_co_u32 v74, s0, s4, v60
	s_delay_alu instid0(VALU_DEP_1)
	v_add_co_ci_u32_e64 v75, null, s5, 0, s0
	s_clause 0x1
	global_load_b128 v[60:63], v[76:77], off offset:16
	global_load_b128 v[68:71], v[76:77], off offset:48
	v_add_co_u32 v100, vcc_lo, 0x2190, v74
	v_add_co_ci_u32_e32 v101, vcc_lo, 0, v75, vcc_lo
	v_add_co_u32 v104, vcc_lo, 0x2000, v74
	v_add_co_ci_u32_e32 v105, vcc_lo, 0, v75, vcc_lo
	global_load_b128 v[64:67], v[100:101], off offset:32
	v_add_co_u32 v86, vcc_lo, s4, v72
	v_add_co_ci_u32_e32 v87, vcc_lo, s5, v73, vcc_lo
	global_load_b128 v[72:75], v[104:105], off offset:464
	v_add_co_u32 v112, vcc_lo, 0x2190, v86
	v_add_co_ci_u32_e32 v113, vcc_lo, 0, v87, vcc_lo
	s_clause 0x1
	global_load_b128 v[76:79], v[76:77], off offset:32
	global_load_b128 v[80:83], v[112:113], off offset:32
	v_add_co_u32 v92, vcc_lo, 0x2000, v84
	v_add_co_ci_u32_e32 v93, vcc_lo, 0, v85, vcc_lo
	v_add_co_u32 v116, vcc_lo, 0x2000, v86
	v_add_co_ci_u32_e32 v117, vcc_lo, 0, v87, vcc_lo
	s_clause 0x5
	global_load_b128 v[84:87], v[92:93], off offset:464
	global_load_b128 v[88:91], v[116:117], off offset:464
	;; [unrolled: 1-line block ×6, first 2 shown]
	v_add_co_u32 v118, vcc_lo, s4, v108
	v_add_co_ci_u32_e32 v119, vcc_lo, s5, v109, vcc_lo
	s_clause 0x1
	global_load_b128 v[108:111], v[112:113], off offset:48
	global_load_b128 v[112:115], v[112:113], off offset:16
	v_add_co_u32 v132, vcc_lo, 0x2190, v118
	v_add_co_ci_u32_e32 v133, vcc_lo, 0, v119, vcc_lo
	v_add_co_u32 v136, vcc_lo, 0x2000, v118
	v_add_co_ci_u32_e32 v137, vcc_lo, 0, v119, vcc_lo
	;; [unrolled: 2-line block ×3, first 2 shown]
	s_clause 0x3
	global_load_b128 v[116:119], v[116:117], off offset:400
	global_load_b128 v[120:123], v[132:133], off offset:16
	;; [unrolled: 1-line block ×4, first 2 shown]
	v_add_co_u32 v152, vcc_lo, 0x2190, v144
	v_add_co_ci_u32_e32 v153, vcc_lo, 0, v145, vcc_lo
	s_clause 0x2
	global_load_b128 v[132:135], v[132:133], off offset:32
	global_load_b128 v[136:139], v[136:137], off offset:464
	global_load_b128 v[140:143], v[152:153], off offset:16
	v_add_co_u32 v156, vcc_lo, 0x2000, v144
	v_add_co_ci_u32_e32 v157, vcc_lo, 0, v145, vcc_lo
	s_clause 0x3
	global_load_b128 v[144:147], v[152:153], off offset:48
	global_load_b128 v[148:151], v[156:157], off offset:400
	;; [unrolled: 1-line block ×4, first 2 shown]
	ds_load_2addr_b64 v[160:163], v194 offset0:104 offset1:212
	ds_load_2addr_b64 v[164:167], v193 offset0:32 offset1:140
	;; [unrolled: 1-line block ×6, first 2 shown]
	v_lshlrev_b64 v[174:175], 4, v[174:175]
	v_add_co_u32 v239, vcc_lo, s8, v172
	v_add_co_ci_u32_e32 v240, vcc_lo, s9, v173, vcc_lo
	s_delay_alu instid0(VALU_DEP_2) | instskip(NEXT) | instid1(VALU_DEP_2)
	v_add_co_u32 v172, vcc_lo, v239, v174
	v_add_co_ci_u32_e32 v173, vcc_lo, v240, v175, vcc_lo
	s_waitcnt vmcnt(24) lgkmcnt(5)
	v_mul_f64 v[181:182], v[62:63], v[160:161]
	v_mul_f64 v[227:228], v[60:61], v[160:161]
	s_waitcnt vmcnt(23) lgkmcnt(4)
	v_mul_f64 v[231:232], v[68:69], v[164:165]
	s_waitcnt vmcnt(22)
	v_mul_f64 v[196:197], v[66:67], v[162:163]
	v_mul_f64 v[229:230], v[64:65], v[162:163]
	ds_load_2addr_b64 v[160:163], v188 offset0:16 offset1:124
	ds_load_2addr_b64 v[203:206], v189 offset0:72 offset1:180
	;; [unrolled: 1-line block ×8, first 2 shown]
	v_mul_f64 v[184:185], v[70:71], v[164:165]
	s_waitcnt vmcnt(21)
	v_mul_f64 v[233:234], v[74:75], v[166:167]
	v_mul_f64 v[235:236], v[72:73], v[166:167]
	v_mul_hi_u32 v186, 0xf2b9d649, v198
	ds_load_2addr_b64 v[164:167], v183 offset1:108
	s_waitcnt vmcnt(20) lgkmcnt(10)
	v_mul_f64 v[237:238], v[78:79], v[194:195]
	v_lshrrev_b32_e32 v186, 9, v186
	s_delay_alu instid0(VALU_DEP_1)
	v_mad_u32_u24 v175, 0xa8c, v186, v198
	v_fma_f64 v[60:61], v[56:57], v[60:61], -v[181:182]
	v_fma_f64 v[56:57], v[56:57], v[62:63], v[227:228]
	v_mul_f64 v[62:63], v[76:77], v[194:195]
	s_waitcnt vmcnt(19)
	v_mul_f64 v[181:182], v[82:83], v[192:193]
	v_mul_f64 v[191:192], v[80:81], v[192:193]
	v_add_co_u32 v193, vcc_lo, 0x2000, v172
	v_add_co_ci_u32_e32 v194, vcc_lo, 0, v173, vcc_lo
	v_add_co_u32 v195, vcc_lo, 0x4000, v172
	v_fma_f64 v[64:65], v[58:59], v[64:65], -v[196:197]
	v_add_co_ci_u32_e32 v196, vcc_lo, 0, v173, vcc_lo
	v_add_co_u32 v197, vcc_lo, 0x6000, v172
	v_add_co_ci_u32_e32 v198, vcc_lo, 0, v173, vcc_lo
	v_add_co_u32 v227, vcc_lo, 0x8000, v172
	v_add_co_ci_u32_e32 v228, vcc_lo, 0, v173, vcc_lo
	v_fma_f64 v[68:69], v[52:53], v[68:69], -v[184:185]
	s_waitcnt vmcnt(17) lgkmcnt(9)
	v_mul_f64 v[183:184], v[90:91], v[199:200]
	v_mul_f64 v[185:186], v[88:89], v[199:200]
	v_add_co_u32 v199, vcc_lo, 0xa000, v172
	v_add_co_ci_u32_e32 v200, vcc_lo, 0, v173, vcc_lo
	v_fma_f64 v[58:59], v[58:59], v[66:67], v[229:230]
	v_mul_f64 v[66:67], v[86:87], v[201:202]
	v_fma_f64 v[52:53], v[52:53], v[70:71], v[231:232]
	v_mul_f64 v[70:71], v[84:85], v[201:202]
	v_add_co_u32 v201, vcc_lo, 0x5000, v172
	v_add_co_ci_u32_e32 v202, vcc_lo, 0, v173, vcc_lo
	v_fma_f64 v[72:73], v[54:55], v[72:73], -v[233:234]
	v_fma_f64 v[54:55], v[54:55], v[74:75], v[235:236]
	v_add_co_u32 v229, vcc_lo, 0x7000, v172
	v_lshlrev_b64 v[74:75], 4, v[175:176]
	s_waitcnt vmcnt(16)
	v_mul_f64 v[174:175], v[94:95], v[179:180]
	v_fma_f64 v[76:77], v[50:51], v[76:77], -v[237:238]
	v_fma_f64 v[50:51], v[50:51], v[78:79], v[62:63]
	s_waitcnt vmcnt(15) lgkmcnt(2)
	v_mul_f64 v[62:63], v[98:99], v[219:220]
	v_mul_f64 v[78:79], v[96:97], v[219:220]
	v_add_co_ci_u32_e32 v230, vcc_lo, 0, v173, vcc_lo
	v_fma_f64 v[80:81], v[48:49], v[80:81], -v[181:182]
	v_add_co_u32 v181, vcc_lo, 0x9000, v172
	v_add_co_ci_u32_e32 v182, vcc_lo, 0, v173, vcc_lo
	v_add_co_u32 v219, vcc_lo, v239, v74
	v_fma_f64 v[48:49], v[48:49], v[82:83], v[191:192]
	s_waitcnt vmcnt(14) lgkmcnt(1)
	v_mul_f64 v[82:83], v[102:103], v[223:224]
	v_mul_f64 v[191:192], v[100:101], v[223:224]
	v_add_co_ci_u32_e32 v220, vcc_lo, v240, v75, vcc_lo
	s_waitcnt vmcnt(13)
	v_mul_f64 v[74:75], v[106:107], v[170:171]
	v_mul_f64 v[170:171], v[104:105], v[170:171]
	;; [unrolled: 1-line block ×3, first 2 shown]
	v_add_co_u32 v223, vcc_lo, 0xb000, v172
	v_add_co_ci_u32_e32 v224, vcc_lo, 0, v173, vcc_lo
	v_fma_f64 v[66:67], v[46:47], v[84:85], -v[66:67]
	v_fma_f64 v[84:85], v[44:45], v[88:89], -v[183:184]
	v_fma_f64 v[46:47], v[46:47], v[86:87], v[70:71]
	v_fma_f64 v[44:45], v[44:45], v[90:91], v[185:186]
	s_waitcnt vmcnt(12)
	v_mul_f64 v[86:87], v[110:111], v[205:206]
	v_mul_f64 v[90:91], v[108:109], v[205:206]
	s_waitcnt vmcnt(11)
	v_mul_f64 v[70:71], v[114:115], v[162:163]
	s_waitcnt vmcnt(9)
	;; [unrolled: 2-line block ×3, first 2 shown]
	v_mul_f64 v[185:186], v[130:131], v[203:204]
	v_mul_f64 v[88:89], v[112:113], v[162:163]
	;; [unrolled: 1-line block ×4, first 2 shown]
	v_fma_f64 v[92:93], v[42:43], v[92:93], -v[174:175]
	s_waitcnt vmcnt(6)
	v_mul_f64 v[174:175], v[134:135], v[213:214]
	v_mul_f64 v[160:161], v[120:121], v[160:161]
	v_fma_f64 v[62:63], v[16:17], v[96:97], -v[62:63]
	v_fma_f64 v[16:17], v[16:17], v[98:99], v[78:79]
	s_waitcnt vmcnt(5)
	v_mul_f64 v[78:79], v[138:139], v[217:218]
	v_mul_f64 v[96:97], v[132:133], v[213:214]
	v_mul_f64 v[98:99], v[136:137], v[217:218]
	s_waitcnt vmcnt(0)
	v_mul_f64 v[213:214], v[156:157], v[215:216]
	v_mul_f64 v[203:204], v[128:129], v[203:204]
	v_add_co_u32 v205, vcc_lo, 0x1000, v172
	v_add_co_ci_u32_e32 v206, vcc_lo, 0, v173, vcc_lo
	v_fma_f64 v[82:83], v[28:29], v[100:101], -v[82:83]
	v_fma_f64 v[28:29], v[28:29], v[102:103], v[191:192]
	v_mul_f64 v[100:101], v[142:143], v[221:222]
	v_mul_f64 v[102:103], v[140:141], v[221:222]
	v_fma_f64 v[74:75], v[10:11], v[104:105], -v[74:75]
	v_fma_f64 v[10:11], v[10:11], v[106:107], v[170:171]
	v_mul_f64 v[104:105], v[150:151], v[187:188]
	v_mul_f64 v[106:107], v[154:155], v[211:212]
	;; [unrolled: 1-line block ×4, first 2 shown]
	v_fma_f64 v[42:43], v[42:43], v[94:95], v[179:180]
	v_mul_f64 v[94:95], v[126:127], v[189:190]
	v_mul_f64 v[189:190], v[124:125], v[189:190]
	;; [unrolled: 1-line block ×4, first 2 shown]
	v_fma_f64 v[86:87], v[38:39], v[108:109], -v[86:87]
	v_fma_f64 v[38:39], v[38:39], v[110:111], v[90:91]
	v_mul_f64 v[191:192], v[144:145], v[225:226]
	v_fma_f64 v[70:71], v[34:35], v[112:113], -v[70:71]
	v_fma_f64 v[90:91], v[32:33], v[120:121], -v[183:184]
	;; [unrolled: 1-line block ×3, first 2 shown]
	v_add_f64 v[120:121], v[50:51], v[46:47]
	v_add_f64 v[128:129], v[64:65], v[72:73]
	v_fma_f64 v[34:35], v[34:35], v[114:115], v[88:89]
	v_fma_f64 v[110:111], v[26:27], v[132:133], -v[174:175]
	v_fma_f64 v[88:89], v[40:41], v[116:117], -v[162:163]
	v_fma_f64 v[40:41], v[40:41], v[118:119], v[176:177]
	v_add_f64 v[114:115], v[76:77], v[66:67]
	v_fma_f64 v[78:79], v[22:23], v[136:137], -v[78:79]
	v_fma_f64 v[26:27], v[26:27], v[134:135], v[96:97]
	v_fma_f64 v[22:23], v[22:23], v[138:139], v[98:99]
	v_add_f64 v[116:117], v[50:51], -v[46:47]
	v_add_f64 v[118:119], v[76:77], -v[66:67]
	v_add_f64 v[76:77], v[92:93], v[76:77]
	v_fma_f64 v[32:33], v[32:33], v[122:123], v[160:161]
	v_fma_f64 v[36:37], v[36:37], v[130:131], v[203:204]
	v_add_f64 v[134:135], v[58:59], -v[54:55]
	v_add_f64 v[136:137], v[64:65], -v[72:73]
	;; [unrolled: 1-line block ×3, first 2 shown]
	v_add_f64 v[112:113], v[56:57], v[52:53]
	v_fma_f64 v[96:97], v[18:19], v[140:141], -v[100:101]
	v_fma_f64 v[18:19], v[18:19], v[142:143], v[102:103]
	v_add_f64 v[140:141], v[48:49], v[44:45]
	v_add_f64 v[142:143], v[80:81], v[84:85]
	v_fma_f64 v[100:101], v[12:13], v[148:149], -v[104:105]
	v_fma_f64 v[102:103], v[24:25], v[152:153], -v[106:107]
	v_fma_f64 v[24:25], v[24:25], v[154:155], v[170:171]
	v_fma_f64 v[104:105], v[20:21], v[158:159], v[213:214]
	v_fma_f64 v[20:21], v[20:21], v[156:157], -v[211:212]
	v_fma_f64 v[94:95], v[14:15], v[124:125], -v[94:95]
	v_fma_f64 v[14:15], v[14:15], v[126:127], v[189:190]
	v_add_f64 v[126:127], v[58:59], v[54:55]
	v_fma_f64 v[12:13], v[12:13], v[150:151], v[187:188]
	v_fma_f64 v[98:99], v[30:31], v[144:145], -v[178:179]
	v_add_f64 v[106:107], v[60:61], -v[68:69]
	v_add_f64 v[50:51], v[42:43], v[50:51]
	v_add_f64 v[124:125], v[60:61], v[68:69]
	;; [unrolled: 1-line block ×3, first 2 shown]
	v_fma_f64 v[30:31], v[30:31], v[146:147], v[191:192]
	v_add_f64 v[58:59], v[10:11], v[58:59]
	v_add_f64 v[144:145], v[62:63], v[82:83]
	;; [unrolled: 1-line block ×4, first 2 shown]
	v_add_f64 v[146:147], v[70:71], -v[86:87]
	v_add_f64 v[160:161], v[70:71], v[86:87]
	v_add_f64 v[70:71], v[6:7], v[70:71]
	;; [unrolled: 1-line block ×3, first 2 shown]
	v_fma_f64 v[42:43], v[120:121], -0.5, v[42:43]
	v_add_f64 v[150:151], v[26:27], v[22:23]
	v_fma_f64 v[74:75], v[128:129], -0.5, v[74:75]
	v_add_f64 v[122:123], v[56:57], v[168:169]
	v_add_f64 v[152:153], v[48:49], -v[44:45]
	v_add_f64 v[156:157], v[80:81], -v[84:85]
	v_add_f64 v[48:49], v[40:41], v[48:49]
	v_add_f64 v[80:81], v[88:89], v[80:81]
	;; [unrolled: 1-line block ×3, first 2 shown]
	v_add_f64 v[178:179], v[26:27], -v[22:23]
	v_add_f64 v[183:184], v[110:111], -v[78:79]
	s_waitcnt lgkmcnt(0)
	v_add_f64 v[138:139], v[16:17], v[164:165]
	v_add_f64 v[148:149], v[34:35], v[38:39]
	v_fma_f64 v[40:41], v[140:141], -0.5, v[40:41]
	v_fma_f64 v[88:89], v[142:143], -0.5, v[88:89]
	v_add_f64 v[191:192], v[18:19], v[166:167]
	v_fma_f64 v[92:93], v[114:115], -0.5, v[92:93]
	v_add_f64 v[56:57], v[56:57], -v[52:53]
	v_add_f64 v[162:163], v[24:25], v[104:105]
	v_add_f64 v[170:171], v[102:103], v[20:21]
	;; [unrolled: 1-line block ×4, first 2 shown]
	v_fma_f64 v[10:11], v[126:127], -0.5, v[10:11]
	v_add_f64 v[128:129], v[24:25], -v[104:105]
	v_add_f64 v[189:190], v[102:103], -v[20:21]
	v_add_f64 v[24:25], v[12:13], v[24:25]
	v_add_f64 v[140:141], v[96:97], v[98:99]
	v_add_f64 v[46:47], v[50:51], v[46:47]
	v_add_f64 v[50:51], v[60:61], v[68:69]
	v_add_f64 v[60:61], v[76:77], v[66:67]
	v_add_f64 v[120:121], v[96:97], -v[98:99]
	v_add_f64 v[126:127], v[18:19], v[30:31]
	v_add_f64 v[142:143], v[18:19], -v[30:31]
	v_add_f64 v[18:19], v[2:3], v[96:97]
	v_add_f64 v[96:97], v[100:101], v[102:103]
	;; [unrolled: 1-line block ×3, first 2 shown]
	v_fma_f64 v[8:9], v[124:125], -0.5, v[8:9]
	v_fma_f64 v[94:95], v[154:155], -0.5, v[94:95]
	v_add_f64 v[62:63], v[62:63], v[82:83]
	v_fma_f64 v[14:15], v[150:151], -0.5, v[14:15]
	v_fma_f64 v[76:77], v[118:119], s[2:3], v[42:43]
	v_add_f64 v[70:71], v[70:71], v[86:87]
	v_fma_f64 v[86:87], v[134:135], s[2:3], v[74:75]
	v_add_f64 v[187:188], v[90:91], v[108:109]
	v_fma_f64 v[102:103], v[112:113], -0.5, v[168:169]
	v_add_f64 v[52:53], v[52:53], v[122:123]
	v_add_f64 v[16:17], v[16:17], -v[28:29]
	v_add_f64 v[174:175], v[90:91], -v[108:109]
	v_add_f64 v[176:177], v[32:33], v[36:37]
	v_add_f64 v[185:186], v[32:33], v[207:208]
	;; [unrolled: 1-line block ×3, first 2 shown]
	v_fma_f64 v[114:115], v[156:157], s[2:3], v[40:41]
	v_fma_f64 v[122:123], v[152:153], s[2:3], v[88:89]
	;; [unrolled: 1-line block ×3, first 2 shown]
	v_fma_f64 v[68:69], v[132:133], -0.5, v[164:165]
	v_add_f64 v[54:55], v[58:59], v[54:55]
	v_fma_f64 v[12:13], v[162:163], -0.5, v[12:13]
	v_fma_f64 v[66:67], v[170:171], -0.5, v[100:101]
	;; [unrolled: 1-line block ×3, first 2 shown]
	v_fma_f64 v[74:75], v[134:135], s[6:7], v[74:75]
	v_fma_f64 v[82:83], v[136:137], s[2:3], v[10:11]
	;; [unrolled: 1-line block ×4, first 2 shown]
	v_add_f64 v[78:79], v[110:111], v[78:79]
	v_add_f64 v[28:29], v[28:29], v[138:139]
	v_fma_f64 v[136:137], v[140:141], -0.5, v[2:3]
	v_add_f64 v[64:65], v[64:65], v[72:73]
	v_add_f64 v[34:35], v[34:35], -v[38:39]
	v_fma_f64 v[72:73], v[148:149], -0.5, v[209:210]
	v_add_f64 v[44:45], v[48:49], v[44:45]
	v_fma_f64 v[48:49], v[160:161], -0.5, v[6:7]
	v_fma_f64 v[42:43], v[118:119], s[6:7], v[42:43]
	v_add_f64 v[96:97], v[96:97], v[20:21]
	v_fma_f64 v[20:21], v[116:117], s[6:7], v[92:93]
	v_fma_f64 v[92:93], v[116:117], s[2:3], v[92:93]
	;; [unrolled: 1-line block ×6, first 2 shown]
	v_add_f64 v[38:39], v[38:39], v[158:159]
	v_add_f64 v[112:113], v[26:27], v[22:23]
	;; [unrolled: 1-line block ×3, first 2 shown]
	v_fma_f64 v[150:151], v[56:57], s[6:7], v[8:9]
	v_mul_f64 v[22:23], v[76:77], -0.5
	v_fma_f64 v[116:117], v[56:57], s[2:3], v[8:9]
	v_mul_f64 v[26:27], v[86:87], s[6:7]
	v_fma_f64 v[124:125], v[187:188], -0.5, v[4:5]
	v_fma_f64 v[144:145], v[106:107], s[2:3], v[102:103]
	v_fma_f64 v[148:149], v[106:107], s[6:7], v[102:103]
	v_add_f64 v[0:1], v[50:51], -v[60:61]
	v_add_f64 v[4:5], v[50:51], v[60:61]
	v_mul_f64 v[50:51], v[122:123], s[6:7]
	v_mul_f64 v[102:103], v[40:41], s[2:3]
	v_add_f64 v[32:33], v[32:33], -v[36:37]
	v_fma_f64 v[138:139], v[189:190], s[2:3], v[12:13]
	v_fma_f64 v[140:141], v[128:129], s[6:7], v[66:67]
	;; [unrolled: 1-line block ×4, first 2 shown]
	v_mul_f64 v[24:25], v[82:83], -0.5
	v_mul_f64 v[56:57], v[100:101], s[2:3]
	v_add_f64 v[80:81], v[80:81], v[84:85]
	v_fma_f64 v[84:85], v[176:177], -0.5, v[207:208]
	v_add_f64 v[36:37], v[36:37], v[185:186]
	v_add_f64 v[90:91], v[90:91], v[108:109]
	v_fma_f64 v[108:109], v[126:127], -0.5, v[166:167]
	v_add_f64 v[126:127], v[30:31], v[191:192]
	v_add_f64 v[2:3], v[52:53], -v[46:47]
	v_mul_f64 v[30:31], v[74:75], -0.5
	v_add_f64 v[6:7], v[52:53], v[46:47]
	v_fma_f64 v[60:61], v[130:131], s[2:3], v[68:69]
	v_mul_f64 v[46:47], v[114:115], -0.5
	v_mul_f64 v[52:53], v[88:89], -0.5
	v_fma_f64 v[68:69], v[130:131], s[6:7], v[68:69]
	v_fma_f64 v[106:107], v[16:17], s[6:7], v[58:59]
	;; [unrolled: 1-line block ×3, first 2 shown]
	v_mul_f64 v[58:59], v[110:111], -0.5
	v_mul_f64 v[130:131], v[132:133], -0.5
	v_mul_f64 v[152:153], v[94:95], s[6:7]
	v_mul_f64 v[154:155], v[134:135], s[2:3]
	v_add_f64 v[10:11], v[28:29], -v[54:55]
	v_add_f64 v[14:15], v[28:29], v[54:55]
	v_add_f64 v[8:9], v[62:63], -v[64:65]
	v_add_f64 v[12:13], v[62:63], v[64:65]
	v_fma_f64 v[156:157], v[146:147], s[2:3], v[72:73]
	v_fma_f64 v[72:73], v[146:147], s[6:7], v[72:73]
	;; [unrolled: 1-line block ×4, first 2 shown]
	v_mul_f64 v[48:49], v[92:93], s[6:7]
	v_mul_f64 v[160:161], v[42:43], s[2:3]
	v_mul_f64 v[162:163], v[20:21], -0.5
	v_add_f64 v[98:99], v[18:19], v[98:99]
	v_add_f64 v[18:19], v[38:39], -v[44:45]
	v_mul_f64 v[28:29], v[138:139], -0.5
	v_mul_f64 v[54:55], v[140:141], -0.5
	v_mul_f64 v[62:63], v[66:67], s[6:7]
	v_mul_f64 v[64:65], v[128:129], s[2:3]
	v_fma_f64 v[164:165], v[20:21], s[6:7], v[22:23]
	v_add_f64 v[22:23], v[38:39], v[44:45]
	v_fma_f64 v[44:45], v[74:75], s[6:7], v[24:25]
	v_fma_f64 v[74:75], v[100:101], 0.5, v[26:27]
	v_fma_f64 v[86:87], v[86:87], 0.5, v[56:57]
	v_fma_f64 v[40:41], v[40:41], 0.5, v[50:51]
	v_fma_f64 v[102:103], v[122:123], 0.5, v[102:103]
	v_add_f64 v[16:17], v[70:71], -v[80:81]
	v_add_f64 v[20:21], v[70:71], v[80:81]
	v_fma_f64 v[82:83], v[82:83], s[2:3], v[30:31]
	v_fma_f64 v[80:81], v[174:175], s[2:3], v[84:85]
	;; [unrolled: 1-line block ×3, first 2 shown]
	v_add_f64 v[26:27], v[36:37], -v[112:113]
	v_fma_f64 v[84:85], v[88:89], s[6:7], v[46:47]
	v_fma_f64 v[88:89], v[114:115], s[2:3], v[52:53]
	;; [unrolled: 1-line block ×3, first 2 shown]
	v_add_f64 v[30:31], v[36:37], v[112:113]
	v_fma_f64 v[112:113], v[132:133], s[6:7], v[58:59]
	v_fma_f64 v[110:111], v[110:111], s[2:3], v[130:131]
	;; [unrolled: 1-line block ×3, first 2 shown]
	v_fma_f64 v[130:131], v[134:135], 0.5, v[152:153]
	v_fma_f64 v[132:133], v[94:95], 0.5, v[154:155]
	v_fma_f64 v[124:125], v[120:121], s[2:3], v[108:109]
	v_fma_f64 v[108:109], v[120:121], s[6:7], v[108:109]
	;; [unrolled: 1-line block ×4, first 2 shown]
	v_add_f64 v[34:35], v[126:127], -v[104:105]
	v_add_f64 v[38:39], v[126:127], v[104:105]
	v_add_f64 v[24:25], v[90:91], -v[78:79]
	v_fma_f64 v[126:127], v[42:43], 0.5, v[48:49]
	v_fma_f64 v[142:143], v[92:93], 0.5, v[160:161]
	v_fma_f64 v[152:153], v[76:77], s[2:3], v[162:163]
	v_add_f64 v[36:37], v[98:99], v[96:97]
	v_add_f64 v[32:33], v[98:99], -v[96:97]
	v_fma_f64 v[134:135], v[140:141], s[6:7], v[28:29]
	v_fma_f64 v[138:139], v[138:139], s[2:3], v[54:55]
	v_fma_f64 v[128:129], v[128:129], 0.5, v[62:63]
	v_fma_f64 v[140:141], v[66:67], 0.5, v[64:65]
	v_add_f64 v[28:29], v[90:91], v[78:79]
	v_add_co_u32 v215, vcc_lo, 0x3000, v172
	v_add_f64 v[50:51], v[60:61], -v[44:45]
	v_add_f64 v[58:59], v[60:61], v[44:45]
	v_add_f64 v[62:63], v[68:69], v[74:75]
	;; [unrolled: 1-line block ×5, first 2 shown]
	v_add_f64 v[54:55], v[68:69], -v[74:75]
	v_add_f64 v[52:53], v[118:119], -v[86:87]
	v_add_f64 v[70:71], v[72:73], -v[40:41]
	v_add_f64 v[68:69], v[158:159], -v[102:103]
	v_add_f64 v[66:67], v[156:157], -v[84:85]
	v_add_f64 v[74:75], v[156:157], v[84:85]
	v_add_f64 v[72:73], v[146:147], v[88:89]
	v_add_f64 v[64:65], v[146:147], -v[88:89]
	v_add_f64 v[86:87], v[80:81], v[112:113]
	v_add_f64 v[84:85], v[114:115], v[110:111]
	v_add_f64 v[48:49], v[106:107], -v[82:83]
	v_add_f64 v[90:91], v[100:101], -v[130:131]
	;; [unrolled: 1-line block ×3, first 2 shown]
	v_add_f64 v[56:57], v[106:107], v[82:83]
	v_add_f64 v[82:83], v[80:81], -v[112:113]
	v_add_f64 v[80:81], v[114:115], -v[110:111]
	v_add_f64 v[94:95], v[100:101], v[130:131]
	v_add_co_ci_u32_e32 v216, vcc_lo, 0, v173, vcc_lo
	v_add_f64 v[92:93], v[122:123], v[132:133]
	v_add_co_u32 v217, vcc_lo, 0x2000, v219
	v_add_f64 v[114:115], v[148:149], v[126:127]
	v_add_f64 v[112:113], v[116:117], v[142:143]
	v_add_co_ci_u32_e32 v218, vcc_lo, 0, v220, vcc_lo
	v_add_f64 v[102:103], v[124:125], v[134:135]
	v_add_f64 v[100:101], v[120:121], v[138:139]
	v_add_f64 v[106:107], v[108:109], -v[128:129]
	v_add_f64 v[104:105], v[136:137], -v[140:141]
	;; [unrolled: 1-line block ×4, first 2 shown]
	v_add_f64 v[110:111], v[108:109], v[128:129]
	v_add_f64 v[108:109], v[136:137], v[140:141]
	;; [unrolled: 1-line block ×4, first 2 shown]
	v_add_co_u32 v221, vcc_lo, 0x4000, v219
	v_add_f64 v[118:119], v[148:149], -v[126:127]
	v_add_f64 v[116:117], v[116:117], -v[142:143]
	v_add_co_ci_u32_e32 v222, vcc_lo, 0, v220, vcc_lo
	v_add_f64 v[42:43], v[144:145], -v[164:165]
	v_add_f64 v[40:41], v[150:151], -v[152:153]
	v_add_co_u32 v225, vcc_lo, 0x6000, v219
	v_add_co_ci_u32_e32 v226, vcc_lo, 0, v220, vcc_lo
	v_add_co_u32 v120, vcc_lo, 0x8000, v219
	v_add_co_ci_u32_e32 v121, vcc_lo, 0, v220, vcc_lo
	;; [unrolled: 2-line block ×3, first 2 shown]
	s_clause 0x1d
	global_store_b128 v[229:230], v[24:27], off offset:704
	global_store_b128 v[229:230], v[16:19], off offset:2432
	global_store_b128 v[172:173], v[12:15], off
	global_store_b128 v[172:173], v[36:39], off offset:1728
	global_store_b128 v[197:198], v[8:11], off offset:1344
	;; [unrolled: 1-line block ×21, first 2 shown]
	global_store_b128 v[219:220], v[4:7], off
	global_store_b128 v[217:218], v[112:115], off offset:448
	global_store_b128 v[221:222], v[44:47], off offset:896
	global_store_b128 v[225:226], v[0:3], off offset:1344
	global_store_b128 v[120:121], v[116:119], off offset:1792
	global_store_b128 v[122:123], v[40:43], off offset:2240
.LBB0_13:
	s_nop 0
	s_sendmsg sendmsg(MSG_DEALLOC_VGPRS)
	s_endpgm
	.section	.rodata,"a",@progbits
	.p2align	6, 0x0
	.amdhsa_kernel fft_rtc_fwd_len3240_factors_3_3_10_6_6_wgs_108_tpt_108_halfLds_dp_ip_CI_unitstride_sbrr_dirReg
		.amdhsa_group_segment_fixed_size 0
		.amdhsa_private_segment_fixed_size 0
		.amdhsa_kernarg_size 88
		.amdhsa_user_sgpr_count 15
		.amdhsa_user_sgpr_dispatch_ptr 0
		.amdhsa_user_sgpr_queue_ptr 0
		.amdhsa_user_sgpr_kernarg_segment_ptr 1
		.amdhsa_user_sgpr_dispatch_id 0
		.amdhsa_user_sgpr_private_segment_size 0
		.amdhsa_wavefront_size32 1
		.amdhsa_uses_dynamic_stack 0
		.amdhsa_enable_private_segment 0
		.amdhsa_system_sgpr_workgroup_id_x 1
		.amdhsa_system_sgpr_workgroup_id_y 0
		.amdhsa_system_sgpr_workgroup_id_z 0
		.amdhsa_system_sgpr_workgroup_info 0
		.amdhsa_system_vgpr_workitem_id 0
		.amdhsa_next_free_vgpr 241
		.amdhsa_next_free_sgpr 21
		.amdhsa_reserve_vcc 1
		.amdhsa_float_round_mode_32 0
		.amdhsa_float_round_mode_16_64 0
		.amdhsa_float_denorm_mode_32 3
		.amdhsa_float_denorm_mode_16_64 3
		.amdhsa_dx10_clamp 1
		.amdhsa_ieee_mode 1
		.amdhsa_fp16_overflow 0
		.amdhsa_workgroup_processor_mode 1
		.amdhsa_memory_ordered 1
		.amdhsa_forward_progress 0
		.amdhsa_shared_vgpr_count 0
		.amdhsa_exception_fp_ieee_invalid_op 0
		.amdhsa_exception_fp_denorm_src 0
		.amdhsa_exception_fp_ieee_div_zero 0
		.amdhsa_exception_fp_ieee_overflow 0
		.amdhsa_exception_fp_ieee_underflow 0
		.amdhsa_exception_fp_ieee_inexact 0
		.amdhsa_exception_int_div_zero 0
	.end_amdhsa_kernel
	.text
.Lfunc_end0:
	.size	fft_rtc_fwd_len3240_factors_3_3_10_6_6_wgs_108_tpt_108_halfLds_dp_ip_CI_unitstride_sbrr_dirReg, .Lfunc_end0-fft_rtc_fwd_len3240_factors_3_3_10_6_6_wgs_108_tpt_108_halfLds_dp_ip_CI_unitstride_sbrr_dirReg
                                        ; -- End function
	.section	.AMDGPU.csdata,"",@progbits
; Kernel info:
; codeLenInByte = 20952
; NumSgprs: 23
; NumVgprs: 241
; ScratchSize: 0
; MemoryBound: 1
; FloatMode: 240
; IeeeMode: 1
; LDSByteSize: 0 bytes/workgroup (compile time only)
; SGPRBlocks: 2
; VGPRBlocks: 30
; NumSGPRsForWavesPerEU: 23
; NumVGPRsForWavesPerEU: 241
; Occupancy: 5
; WaveLimiterHint : 1
; COMPUTE_PGM_RSRC2:SCRATCH_EN: 0
; COMPUTE_PGM_RSRC2:USER_SGPR: 15
; COMPUTE_PGM_RSRC2:TRAP_HANDLER: 0
; COMPUTE_PGM_RSRC2:TGID_X_EN: 1
; COMPUTE_PGM_RSRC2:TGID_Y_EN: 0
; COMPUTE_PGM_RSRC2:TGID_Z_EN: 0
; COMPUTE_PGM_RSRC2:TIDIG_COMP_CNT: 0
	.text
	.p2alignl 7, 3214868480
	.fill 96, 4, 3214868480
	.type	__hip_cuid_ea65e2b947b99eda,@object ; @__hip_cuid_ea65e2b947b99eda
	.section	.bss,"aw",@nobits
	.globl	__hip_cuid_ea65e2b947b99eda
__hip_cuid_ea65e2b947b99eda:
	.byte	0                               ; 0x0
	.size	__hip_cuid_ea65e2b947b99eda, 1

	.ident	"AMD clang version 19.0.0git (https://github.com/RadeonOpenCompute/llvm-project roc-6.4.0 25133 c7fe45cf4b819c5991fe208aaa96edf142730f1d)"
	.section	".note.GNU-stack","",@progbits
	.addrsig
	.addrsig_sym __hip_cuid_ea65e2b947b99eda
	.amdgpu_metadata
---
amdhsa.kernels:
  - .args:
      - .actual_access:  read_only
        .address_space:  global
        .offset:         0
        .size:           8
        .value_kind:     global_buffer
      - .offset:         8
        .size:           8
        .value_kind:     by_value
      - .actual_access:  read_only
        .address_space:  global
        .offset:         16
        .size:           8
        .value_kind:     global_buffer
      - .actual_access:  read_only
        .address_space:  global
        .offset:         24
        .size:           8
        .value_kind:     global_buffer
      - .offset:         32
        .size:           8
        .value_kind:     by_value
      - .actual_access:  read_only
        .address_space:  global
        .offset:         40
        .size:           8
        .value_kind:     global_buffer
      - .actual_access:  read_only
        .address_space:  global
        .offset:         48
        .size:           8
        .value_kind:     global_buffer
      - .offset:         56
        .size:           4
        .value_kind:     by_value
      - .actual_access:  read_only
        .address_space:  global
        .offset:         64
        .size:           8
        .value_kind:     global_buffer
      - .actual_access:  read_only
        .address_space:  global
        .offset:         72
        .size:           8
        .value_kind:     global_buffer
      - .address_space:  global
        .offset:         80
        .size:           8
        .value_kind:     global_buffer
    .group_segment_fixed_size: 0
    .kernarg_segment_align: 8
    .kernarg_segment_size: 88
    .language:       OpenCL C
    .language_version:
      - 2
      - 0
    .max_flat_workgroup_size: 108
    .name:           fft_rtc_fwd_len3240_factors_3_3_10_6_6_wgs_108_tpt_108_halfLds_dp_ip_CI_unitstride_sbrr_dirReg
    .private_segment_fixed_size: 0
    .sgpr_count:     23
    .sgpr_spill_count: 0
    .symbol:         fft_rtc_fwd_len3240_factors_3_3_10_6_6_wgs_108_tpt_108_halfLds_dp_ip_CI_unitstride_sbrr_dirReg.kd
    .uniform_work_group_size: 1
    .uses_dynamic_stack: false
    .vgpr_count:     241
    .vgpr_spill_count: 0
    .wavefront_size: 32
    .workgroup_processor_mode: 1
amdhsa.target:   amdgcn-amd-amdhsa--gfx1100
amdhsa.version:
  - 1
  - 2
...

	.end_amdgpu_metadata
